;; amdgpu-corpus repo=LLNL/RAJAPerf kind=compiled arch=gfx90a opt=O3
	.text
	.amdgcn_target "amdgcn-amd-amdhsa--gfx90a"
	.amdhsa_code_object_version 6
	.section	.text._ZN8rajaperf9polybench13poly_fdtd2d_1ILm256EEEvPdS2_ll,"axG",@progbits,_ZN8rajaperf9polybench13poly_fdtd2d_1ILm256EEEvPdS2_ll,comdat
	.protected	_ZN8rajaperf9polybench13poly_fdtd2d_1ILm256EEEvPdS2_ll ; -- Begin function _ZN8rajaperf9polybench13poly_fdtd2d_1ILm256EEEvPdS2_ll
	.globl	_ZN8rajaperf9polybench13poly_fdtd2d_1ILm256EEEvPdS2_ll
	.p2align	8
	.type	_ZN8rajaperf9polybench13poly_fdtd2d_1ILm256EEEvPdS2_ll,@function
_ZN8rajaperf9polybench13poly_fdtd2d_1ILm256EEEvPdS2_ll: ; @_ZN8rajaperf9polybench13poly_fdtd2d_1ILm256EEEvPdS2_ll
; %bb.0:
	s_load_dwordx8 s[8:15], s[4:5], 0x0
	s_mov_b32 s7, 0
	s_lshl_b64 s[0:1], s[6:7], 8
	v_or_b32_e32 v0, s0, v0
	v_mov_b32_e32 v1, s1
	s_waitcnt lgkmcnt(0)
	v_cmp_gt_i64_e32 vcc, s[12:13], v[0:1]
	s_and_saveexec_b64 s[0:1], vcc
	s_cbranch_execz .LBB0_2
; %bb.1:
	s_lshl_b64 s[0:1], s[14:15], 3
	s_add_u32 s0, s10, s0
	s_addc_u32 s1, s11, s1
	s_load_dwordx2 s[0:1], s[0:1], 0x0
	v_lshlrev_b64 v[0:1], 3, v[0:1]
	v_mov_b32_e32 v2, s9
	v_add_co_u32_e32 v0, vcc, s8, v0
	v_addc_co_u32_e32 v1, vcc, v2, v1, vcc
	s_waitcnt lgkmcnt(0)
	v_pk_mov_b32 v[2:3], s[0:1], s[0:1] op_sel:[0,1]
	global_store_dwordx2 v[0:1], v[2:3], off
.LBB0_2:
	s_endpgm
	.section	.rodata,"a",@progbits
	.p2align	6, 0x0
	.amdhsa_kernel _ZN8rajaperf9polybench13poly_fdtd2d_1ILm256EEEvPdS2_ll
		.amdhsa_group_segment_fixed_size 0
		.amdhsa_private_segment_fixed_size 0
		.amdhsa_kernarg_size 32
		.amdhsa_user_sgpr_count 6
		.amdhsa_user_sgpr_private_segment_buffer 1
		.amdhsa_user_sgpr_dispatch_ptr 0
		.amdhsa_user_sgpr_queue_ptr 0
		.amdhsa_user_sgpr_kernarg_segment_ptr 1
		.amdhsa_user_sgpr_dispatch_id 0
		.amdhsa_user_sgpr_flat_scratch_init 0
		.amdhsa_user_sgpr_kernarg_preload_length 0
		.amdhsa_user_sgpr_kernarg_preload_offset 0
		.amdhsa_user_sgpr_private_segment_size 0
		.amdhsa_uses_dynamic_stack 0
		.amdhsa_system_sgpr_private_segment_wavefront_offset 0
		.amdhsa_system_sgpr_workgroup_id_x 1
		.amdhsa_system_sgpr_workgroup_id_y 0
		.amdhsa_system_sgpr_workgroup_id_z 0
		.amdhsa_system_sgpr_workgroup_info 0
		.amdhsa_system_vgpr_workitem_id 0
		.amdhsa_next_free_vgpr 4
		.amdhsa_next_free_sgpr 16
		.amdhsa_accum_offset 4
		.amdhsa_reserve_vcc 1
		.amdhsa_reserve_flat_scratch 0
		.amdhsa_float_round_mode_32 0
		.amdhsa_float_round_mode_16_64 0
		.amdhsa_float_denorm_mode_32 3
		.amdhsa_float_denorm_mode_16_64 3
		.amdhsa_dx10_clamp 1
		.amdhsa_ieee_mode 1
		.amdhsa_fp16_overflow 0
		.amdhsa_tg_split 0
		.amdhsa_exception_fp_ieee_invalid_op 0
		.amdhsa_exception_fp_denorm_src 0
		.amdhsa_exception_fp_ieee_div_zero 0
		.amdhsa_exception_fp_ieee_overflow 0
		.amdhsa_exception_fp_ieee_underflow 0
		.amdhsa_exception_fp_ieee_inexact 0
		.amdhsa_exception_int_div_zero 0
	.end_amdhsa_kernel
	.section	.text._ZN8rajaperf9polybench13poly_fdtd2d_1ILm256EEEvPdS2_ll,"axG",@progbits,_ZN8rajaperf9polybench13poly_fdtd2d_1ILm256EEEvPdS2_ll,comdat
.Lfunc_end0:
	.size	_ZN8rajaperf9polybench13poly_fdtd2d_1ILm256EEEvPdS2_ll, .Lfunc_end0-_ZN8rajaperf9polybench13poly_fdtd2d_1ILm256EEEvPdS2_ll
                                        ; -- End function
	.section	.AMDGPU.csdata,"",@progbits
; Kernel info:
; codeLenInByte = 104
; NumSgprs: 20
; NumVgprs: 4
; NumAgprs: 0
; TotalNumVgprs: 4
; ScratchSize: 0
; MemoryBound: 0
; FloatMode: 240
; IeeeMode: 1
; LDSByteSize: 0 bytes/workgroup (compile time only)
; SGPRBlocks: 2
; VGPRBlocks: 0
; NumSGPRsForWavesPerEU: 20
; NumVGPRsForWavesPerEU: 4
; AccumOffset: 4
; Occupancy: 8
; WaveLimiterHint : 0
; COMPUTE_PGM_RSRC2:SCRATCH_EN: 0
; COMPUTE_PGM_RSRC2:USER_SGPR: 6
; COMPUTE_PGM_RSRC2:TRAP_HANDLER: 0
; COMPUTE_PGM_RSRC2:TGID_X_EN: 1
; COMPUTE_PGM_RSRC2:TGID_Y_EN: 0
; COMPUTE_PGM_RSRC2:TGID_Z_EN: 0
; COMPUTE_PGM_RSRC2:TIDIG_COMP_CNT: 0
; COMPUTE_PGM_RSRC3_GFX90A:ACCUM_OFFSET: 0
; COMPUTE_PGM_RSRC3_GFX90A:TG_SPLIT: 0
	.section	.text._ZN8rajaperf9polybench13poly_fdtd2d_2ILm32ELm8EEEvPdS2_ll,"axG",@progbits,_ZN8rajaperf9polybench13poly_fdtd2d_2ILm32ELm8EEEvPdS2_ll,comdat
	.protected	_ZN8rajaperf9polybench13poly_fdtd2d_2ILm32ELm8EEEvPdS2_ll ; -- Begin function _ZN8rajaperf9polybench13poly_fdtd2d_2ILm32ELm8EEEvPdS2_ll
	.globl	_ZN8rajaperf9polybench13poly_fdtd2d_2ILm32ELm8EEEvPdS2_ll
	.p2align	8
	.type	_ZN8rajaperf9polybench13poly_fdtd2d_2ILm32ELm8EEEvPdS2_ll,@function
_ZN8rajaperf9polybench13poly_fdtd2d_2ILm32ELm8EEEvPdS2_ll: ; @_ZN8rajaperf9polybench13poly_fdtd2d_2ILm32ELm8EEEvPdS2_ll
; %bb.0:
	s_mov_b32 s0, s7
	s_mov_b32 s1, 0
	s_load_dwordx8 s[8:15], s[4:5], 0x0
	s_lshl_b64 s[2:3], s[0:1], 3
	v_bfe_u32 v1, v0, 10, 10
	v_mov_b32_e32 v3, s3
	v_add_co_u32_e32 v2, vcc, s2, v1
	s_mov_b32 s7, s1
	v_addc_co_u32_e32 v3, vcc, 0, v3, vcc
	s_lshl_b64 s[0:1], s[6:7], 5
	v_and_b32_e32 v0, 0x3ff, v0
	v_mov_b32_e32 v1, s1
	v_add_co_u32_e32 v0, vcc, s0, v0
	v_addc_co_u32_e32 v1, vcc, 0, v1, vcc
	s_waitcnt lgkmcnt(0)
	v_cmp_gt_i64_e64 s[0:1], s[12:13], v[2:3]
	v_cmp_gt_i64_e64 s[2:3], s[14:15], v[0:1]
	v_cmp_ne_u64_e32 vcc, 0, v[2:3]
	s_and_b64 s[0:1], s[0:1], s[2:3]
	s_and_b64 s[0:1], s[0:1], vcc
	s_and_saveexec_b64 s[2:3], s[0:1]
	s_cbranch_execz .LBB1_2
; %bb.1:
	v_mul_lo_u32 v6, v3, s14
	v_mul_lo_u32 v7, v2, s15
	v_mad_u64_u32 v[4:5], s[0:1], v2, s14, 0
	v_mad_u64_u32 v[2:3], s[0:1], v2, s14, v[0:1]
	v_add3_u32 v3, v6, v3, v7
	v_lshlrev_b64 v[2:3], 3, v[2:3]
	v_add3_u32 v5, v5, v7, v6
	v_mov_b32_e32 v7, s9
	v_add_co_u32_e32 v6, vcc, s8, v2
	v_addc_co_u32_e32 v7, vcc, v7, v3, vcc
	v_mov_b32_e32 v8, s11
	v_add_co_u32_e32 v2, vcc, s10, v2
	v_addc_co_u32_e32 v3, vcc, v8, v3, vcc
	v_mov_b32_e32 v8, s15
	v_subrev_co_u32_e32 v4, vcc, s14, v4
	v_subb_co_u32_e32 v5, vcc, v5, v8, vcc
	v_lshlrev_b64 v[0:1], 3, v[0:1]
	v_mov_b32_e32 v8, s11
	v_add_co_u32_e32 v9, vcc, s10, v0
	v_addc_co_u32_e32 v8, vcc, v8, v1, vcc
	v_lshlrev_b64 v[0:1], 3, v[4:5]
	v_add_co_u32_e32 v0, vcc, v9, v0
	v_addc_co_u32_e32 v1, vcc, v8, v1, vcc
	global_load_dwordx2 v[4:5], v[2:3], off
	global_load_dwordx2 v[8:9], v[0:1], off
	;; [unrolled: 1-line block ×3, first 2 shown]
	s_waitcnt vmcnt(1)
	v_add_f64 v[0:1], v[4:5], -v[8:9]
	s_waitcnt vmcnt(0)
	v_fmac_f64_e32 v[10:11], -0.5, v[0:1]
	global_store_dwordx2 v[6:7], v[10:11], off
.LBB1_2:
	s_endpgm
	.section	.rodata,"a",@progbits
	.p2align	6, 0x0
	.amdhsa_kernel _ZN8rajaperf9polybench13poly_fdtd2d_2ILm32ELm8EEEvPdS2_ll
		.amdhsa_group_segment_fixed_size 0
		.amdhsa_private_segment_fixed_size 0
		.amdhsa_kernarg_size 32
		.amdhsa_user_sgpr_count 6
		.amdhsa_user_sgpr_private_segment_buffer 1
		.amdhsa_user_sgpr_dispatch_ptr 0
		.amdhsa_user_sgpr_queue_ptr 0
		.amdhsa_user_sgpr_kernarg_segment_ptr 1
		.amdhsa_user_sgpr_dispatch_id 0
		.amdhsa_user_sgpr_flat_scratch_init 0
		.amdhsa_user_sgpr_kernarg_preload_length 0
		.amdhsa_user_sgpr_kernarg_preload_offset 0
		.amdhsa_user_sgpr_private_segment_size 0
		.amdhsa_uses_dynamic_stack 0
		.amdhsa_system_sgpr_private_segment_wavefront_offset 0
		.amdhsa_system_sgpr_workgroup_id_x 1
		.amdhsa_system_sgpr_workgroup_id_y 1
		.amdhsa_system_sgpr_workgroup_id_z 0
		.amdhsa_system_sgpr_workgroup_info 0
		.amdhsa_system_vgpr_workitem_id 1
		.amdhsa_next_free_vgpr 12
		.amdhsa_next_free_sgpr 16
		.amdhsa_accum_offset 12
		.amdhsa_reserve_vcc 1
		.amdhsa_reserve_flat_scratch 0
		.amdhsa_float_round_mode_32 0
		.amdhsa_float_round_mode_16_64 0
		.amdhsa_float_denorm_mode_32 3
		.amdhsa_float_denorm_mode_16_64 3
		.amdhsa_dx10_clamp 1
		.amdhsa_ieee_mode 1
		.amdhsa_fp16_overflow 0
		.amdhsa_tg_split 0
		.amdhsa_exception_fp_ieee_invalid_op 0
		.amdhsa_exception_fp_denorm_src 0
		.amdhsa_exception_fp_ieee_div_zero 0
		.amdhsa_exception_fp_ieee_overflow 0
		.amdhsa_exception_fp_ieee_underflow 0
		.amdhsa_exception_fp_ieee_inexact 0
		.amdhsa_exception_int_div_zero 0
	.end_amdhsa_kernel
	.section	.text._ZN8rajaperf9polybench13poly_fdtd2d_2ILm32ELm8EEEvPdS2_ll,"axG",@progbits,_ZN8rajaperf9polybench13poly_fdtd2d_2ILm32ELm8EEEvPdS2_ll,comdat
.Lfunc_end1:
	.size	_ZN8rajaperf9polybench13poly_fdtd2d_2ILm32ELm8EEEvPdS2_ll, .Lfunc_end1-_ZN8rajaperf9polybench13poly_fdtd2d_2ILm32ELm8EEEvPdS2_ll
                                        ; -- End function
	.section	.AMDGPU.csdata,"",@progbits
; Kernel info:
; codeLenInByte = 292
; NumSgprs: 20
; NumVgprs: 12
; NumAgprs: 0
; TotalNumVgprs: 12
; ScratchSize: 0
; MemoryBound: 0
; FloatMode: 240
; IeeeMode: 1
; LDSByteSize: 0 bytes/workgroup (compile time only)
; SGPRBlocks: 2
; VGPRBlocks: 1
; NumSGPRsForWavesPerEU: 20
; NumVGPRsForWavesPerEU: 12
; AccumOffset: 12
; Occupancy: 8
; WaveLimiterHint : 0
; COMPUTE_PGM_RSRC2:SCRATCH_EN: 0
; COMPUTE_PGM_RSRC2:USER_SGPR: 6
; COMPUTE_PGM_RSRC2:TRAP_HANDLER: 0
; COMPUTE_PGM_RSRC2:TGID_X_EN: 1
; COMPUTE_PGM_RSRC2:TGID_Y_EN: 1
; COMPUTE_PGM_RSRC2:TGID_Z_EN: 0
; COMPUTE_PGM_RSRC2:TIDIG_COMP_CNT: 1
; COMPUTE_PGM_RSRC3_GFX90A:ACCUM_OFFSET: 2
; COMPUTE_PGM_RSRC3_GFX90A:TG_SPLIT: 0
	.section	.text._ZN8rajaperf9polybench13poly_fdtd2d_3ILm32ELm8EEEvPdS2_ll,"axG",@progbits,_ZN8rajaperf9polybench13poly_fdtd2d_3ILm32ELm8EEEvPdS2_ll,comdat
	.protected	_ZN8rajaperf9polybench13poly_fdtd2d_3ILm32ELm8EEEvPdS2_ll ; -- Begin function _ZN8rajaperf9polybench13poly_fdtd2d_3ILm32ELm8EEEvPdS2_ll
	.globl	_ZN8rajaperf9polybench13poly_fdtd2d_3ILm32ELm8EEEvPdS2_ll
	.p2align	8
	.type	_ZN8rajaperf9polybench13poly_fdtd2d_3ILm32ELm8EEEvPdS2_ll,@function
_ZN8rajaperf9polybench13poly_fdtd2d_3ILm32ELm8EEEvPdS2_ll: ; @_ZN8rajaperf9polybench13poly_fdtd2d_3ILm32ELm8EEEvPdS2_ll
; %bb.0:
	s_mov_b32 s0, s7
	s_mov_b32 s1, 0
	s_load_dwordx8 s[8:15], s[4:5], 0x0
	s_lshl_b64 s[2:3], s[0:1], 3
	v_bfe_u32 v1, v0, 10, 10
	v_mov_b32_e32 v3, s3
	v_add_co_u32_e32 v2, vcc, s2, v1
	s_mov_b32 s7, s1
	v_addc_co_u32_e32 v3, vcc, 0, v3, vcc
	s_lshl_b64 s[0:1], s[6:7], 5
	v_and_b32_e32 v0, 0x3ff, v0
	v_mov_b32_e32 v1, s1
	v_add_co_u32_e32 v0, vcc, s0, v0
	v_addc_co_u32_e32 v1, vcc, 0, v1, vcc
	v_cmp_ne_u64_e64 s[0:1], 0, v[0:1]
	s_waitcnt lgkmcnt(0)
	v_cmp_gt_i64_e64 s[2:3], s[14:15], v[0:1]
	v_cmp_gt_i64_e32 vcc, s[12:13], v[2:3]
	s_and_b64 s[0:1], s[0:1], s[2:3]
	s_and_b64 s[0:1], vcc, s[0:1]
	s_and_saveexec_b64 s[2:3], s[0:1]
	s_cbranch_execz .LBB2_2
; %bb.1:
	v_mul_lo_u32 v4, v3, s14
	v_mul_lo_u32 v5, v2, s15
	v_mad_u64_u32 v[2:3], s[0:1], v2, s14, 0
	v_add3_u32 v3, v3, v5, v4
	v_lshlrev_b64 v[2:3], 3, v[2:3]
	v_mov_b32_e32 v4, s9
	v_add_co_u32_e32 v5, vcc, s8, v2
	v_addc_co_u32_e32 v6, vcc, v4, v3, vcc
	v_lshlrev_b64 v[0:1], 3, v[0:1]
	v_add_co_u32_e32 v4, vcc, v5, v0
	v_addc_co_u32_e32 v5, vcc, v6, v1, vcc
	v_mov_b32_e32 v6, s11
	v_add_co_u32_e32 v0, vcc, s10, v0
	v_addc_co_u32_e32 v1, vcc, v6, v1, vcc
	v_add_co_u32_e32 v6, vcc, v0, v2
	v_addc_co_u32_e32 v7, vcc, v1, v3, vcc
	global_load_dwordx4 v[0:3], v[6:7], off offset:-8
	global_load_dwordx2 v[8:9], v[4:5], off
	s_waitcnt vmcnt(1)
	v_add_f64 v[0:1], v[2:3], -v[0:1]
	s_waitcnt vmcnt(0)
	v_fmac_f64_e32 v[8:9], -0.5, v[0:1]
	global_store_dwordx2 v[4:5], v[8:9], off
.LBB2_2:
	s_endpgm
	.section	.rodata,"a",@progbits
	.p2align	6, 0x0
	.amdhsa_kernel _ZN8rajaperf9polybench13poly_fdtd2d_3ILm32ELm8EEEvPdS2_ll
		.amdhsa_group_segment_fixed_size 0
		.amdhsa_private_segment_fixed_size 0
		.amdhsa_kernarg_size 32
		.amdhsa_user_sgpr_count 6
		.amdhsa_user_sgpr_private_segment_buffer 1
		.amdhsa_user_sgpr_dispatch_ptr 0
		.amdhsa_user_sgpr_queue_ptr 0
		.amdhsa_user_sgpr_kernarg_segment_ptr 1
		.amdhsa_user_sgpr_dispatch_id 0
		.amdhsa_user_sgpr_flat_scratch_init 0
		.amdhsa_user_sgpr_kernarg_preload_length 0
		.amdhsa_user_sgpr_kernarg_preload_offset 0
		.amdhsa_user_sgpr_private_segment_size 0
		.amdhsa_uses_dynamic_stack 0
		.amdhsa_system_sgpr_private_segment_wavefront_offset 0
		.amdhsa_system_sgpr_workgroup_id_x 1
		.amdhsa_system_sgpr_workgroup_id_y 1
		.amdhsa_system_sgpr_workgroup_id_z 0
		.amdhsa_system_sgpr_workgroup_info 0
		.amdhsa_system_vgpr_workitem_id 1
		.amdhsa_next_free_vgpr 10
		.amdhsa_next_free_sgpr 16
		.amdhsa_accum_offset 12
		.amdhsa_reserve_vcc 1
		.amdhsa_reserve_flat_scratch 0
		.amdhsa_float_round_mode_32 0
		.amdhsa_float_round_mode_16_64 0
		.amdhsa_float_denorm_mode_32 3
		.amdhsa_float_denorm_mode_16_64 3
		.amdhsa_dx10_clamp 1
		.amdhsa_ieee_mode 1
		.amdhsa_fp16_overflow 0
		.amdhsa_tg_split 0
		.amdhsa_exception_fp_ieee_invalid_op 0
		.amdhsa_exception_fp_denorm_src 0
		.amdhsa_exception_fp_ieee_div_zero 0
		.amdhsa_exception_fp_ieee_overflow 0
		.amdhsa_exception_fp_ieee_underflow 0
		.amdhsa_exception_fp_ieee_inexact 0
		.amdhsa_exception_int_div_zero 0
	.end_amdhsa_kernel
	.section	.text._ZN8rajaperf9polybench13poly_fdtd2d_3ILm32ELm8EEEvPdS2_ll,"axG",@progbits,_ZN8rajaperf9polybench13poly_fdtd2d_3ILm32ELm8EEEvPdS2_ll,comdat
.Lfunc_end2:
	.size	_ZN8rajaperf9polybench13poly_fdtd2d_3ILm32ELm8EEEvPdS2_ll, .Lfunc_end2-_ZN8rajaperf9polybench13poly_fdtd2d_3ILm32ELm8EEEvPdS2_ll
                                        ; -- End function
	.section	.AMDGPU.csdata,"",@progbits
; Kernel info:
; codeLenInByte = 244
; NumSgprs: 20
; NumVgprs: 10
; NumAgprs: 0
; TotalNumVgprs: 10
; ScratchSize: 0
; MemoryBound: 0
; FloatMode: 240
; IeeeMode: 1
; LDSByteSize: 0 bytes/workgroup (compile time only)
; SGPRBlocks: 2
; VGPRBlocks: 1
; NumSGPRsForWavesPerEU: 20
; NumVGPRsForWavesPerEU: 10
; AccumOffset: 12
; Occupancy: 8
; WaveLimiterHint : 0
; COMPUTE_PGM_RSRC2:SCRATCH_EN: 0
; COMPUTE_PGM_RSRC2:USER_SGPR: 6
; COMPUTE_PGM_RSRC2:TRAP_HANDLER: 0
; COMPUTE_PGM_RSRC2:TGID_X_EN: 1
; COMPUTE_PGM_RSRC2:TGID_Y_EN: 1
; COMPUTE_PGM_RSRC2:TGID_Z_EN: 0
; COMPUTE_PGM_RSRC2:TIDIG_COMP_CNT: 1
; COMPUTE_PGM_RSRC3_GFX90A:ACCUM_OFFSET: 2
; COMPUTE_PGM_RSRC3_GFX90A:TG_SPLIT: 0
	.section	.text._ZN8rajaperf9polybench13poly_fdtd2d_4ILm32ELm8EEEvPdS2_S2_ll,"axG",@progbits,_ZN8rajaperf9polybench13poly_fdtd2d_4ILm32ELm8EEEvPdS2_S2_ll,comdat
	.protected	_ZN8rajaperf9polybench13poly_fdtd2d_4ILm32ELm8EEEvPdS2_S2_ll ; -- Begin function _ZN8rajaperf9polybench13poly_fdtd2d_4ILm32ELm8EEEvPdS2_S2_ll
	.globl	_ZN8rajaperf9polybench13poly_fdtd2d_4ILm32ELm8EEEvPdS2_S2_ll
	.p2align	8
	.type	_ZN8rajaperf9polybench13poly_fdtd2d_4ILm32ELm8EEEvPdS2_S2_ll,@function
_ZN8rajaperf9polybench13poly_fdtd2d_4ILm32ELm8EEEvPdS2_S2_ll: ; @_ZN8rajaperf9polybench13poly_fdtd2d_4ILm32ELm8EEEvPdS2_S2_ll
; %bb.0:
	s_mov_b32 s0, s7
	s_load_dwordx8 s[8:15], s[4:5], 0x0
	s_load_dwordx2 s[2:3], s[4:5], 0x20
	s_mov_b32 s1, 0
	s_lshl_b64 s[4:5], s[0:1], 3
	v_bfe_u32 v1, v0, 10, 10
	v_mov_b32_e32 v3, s5
	v_add_co_u32_e32 v2, vcc, s4, v1
	s_mov_b32 s7, s1
	v_addc_co_u32_e32 v3, vcc, 0, v3, vcc
	s_lshl_b64 s[0:1], s[6:7], 5
	v_and_b32_e32 v0, 0x3ff, v0
	v_mov_b32_e32 v1, s1
	v_add_co_u32_e32 v0, vcc, s0, v0
	s_waitcnt lgkmcnt(0)
	s_add_u32 s0, s14, -1
	v_addc_co_u32_e32 v1, vcc, 0, v1, vcc
	s_addc_u32 s1, s15, -1
	v_cmp_gt_i64_e32 vcc, s[0:1], v[2:3]
	s_add_u32 s0, s2, -1
	s_addc_u32 s1, s3, -1
	v_cmp_gt_i64_e64 s[0:1], s[0:1], v[0:1]
	s_and_b64 s[0:1], vcc, s[0:1]
	s_and_saveexec_b64 s[4:5], s[0:1]
	s_cbranch_execz .LBB3_2
; %bb.1:
	v_mul_lo_u32 v14, v3, s2
	v_mul_lo_u32 v15, v2, s3
	v_mad_u64_u32 v[4:5], s[0:1], v2, s2, v[0:1]
	v_add3_u32 v5, v14, v5, v15
	v_lshlrev_b64 v[10:11], 3, v[4:5]
	v_mov_b32_e32 v3, s11
	v_add_co_u32_e32 v4, vcc, s10, v10
	v_pk_mov_b32 v[12:13], s[2:3], s[2:3] op_sel:[0,1]
	v_mad_u64_u32 v[8:9], s[0:1], v2, s2, 0
	v_addc_co_u32_e32 v5, vcc, v3, v11, vcc
	v_mad_u64_u32 v[2:3], s[0:1], v2, s2, v[12:13]
	v_lshlrev_b64 v[0:1], 3, v[0:1]
	v_add3_u32 v3, v14, v3, v15
	v_mov_b32_e32 v12, s13
	v_add_co_u32_e32 v13, vcc, s12, v0
	v_addc_co_u32_e32 v12, vcc, v12, v1, vcc
	v_lshlrev_b64 v[0:1], 3, v[2:3]
	v_add3_u32 v9, v9, v15, v14
	v_add_co_u32_e32 v0, vcc, v13, v0
	v_addc_co_u32_e32 v1, vcc, v12, v1, vcc
	v_lshlrev_b64 v[2:3], 3, v[8:9]
	v_add_co_u32_e32 v2, vcc, v13, v2
	global_load_dwordx4 v[4:7], v[4:5], off
	v_addc_co_u32_e32 v3, vcc, v12, v3, vcc
	v_mov_b32_e32 v16, s9
	global_load_dwordx2 v[8:9], v[0:1], off
	global_load_dwordx2 v[12:13], v[2:3], off
	v_add_co_u32_e32 v0, vcc, s8, v10
	v_addc_co_u32_e32 v1, vcc, v16, v11, vcc
	global_load_dwordx2 v[2:3], v[0:1], off
	s_mov_b32 s0, 0x66666666
	s_mov_b32 s1, 0xbfe66666
	s_waitcnt vmcnt(3)
	v_add_f64 v[4:5], v[6:7], -v[4:5]
	s_waitcnt vmcnt(2)
	v_add_f64 v[4:5], v[4:5], v[8:9]
	s_waitcnt vmcnt(1)
	v_add_f64 v[4:5], v[4:5], -v[12:13]
	s_waitcnt vmcnt(0)
	v_fmac_f64_e32 v[2:3], s[0:1], v[4:5]
	global_store_dwordx2 v[0:1], v[2:3], off
.LBB3_2:
	s_endpgm
	.section	.rodata,"a",@progbits
	.p2align	6, 0x0
	.amdhsa_kernel _ZN8rajaperf9polybench13poly_fdtd2d_4ILm32ELm8EEEvPdS2_S2_ll
		.amdhsa_group_segment_fixed_size 0
		.amdhsa_private_segment_fixed_size 0
		.amdhsa_kernarg_size 40
		.amdhsa_user_sgpr_count 6
		.amdhsa_user_sgpr_private_segment_buffer 1
		.amdhsa_user_sgpr_dispatch_ptr 0
		.amdhsa_user_sgpr_queue_ptr 0
		.amdhsa_user_sgpr_kernarg_segment_ptr 1
		.amdhsa_user_sgpr_dispatch_id 0
		.amdhsa_user_sgpr_flat_scratch_init 0
		.amdhsa_user_sgpr_kernarg_preload_length 0
		.amdhsa_user_sgpr_kernarg_preload_offset 0
		.amdhsa_user_sgpr_private_segment_size 0
		.amdhsa_uses_dynamic_stack 0
		.amdhsa_system_sgpr_private_segment_wavefront_offset 0
		.amdhsa_system_sgpr_workgroup_id_x 1
		.amdhsa_system_sgpr_workgroup_id_y 1
		.amdhsa_system_sgpr_workgroup_id_z 0
		.amdhsa_system_sgpr_workgroup_info 0
		.amdhsa_system_vgpr_workitem_id 1
		.amdhsa_next_free_vgpr 17
		.amdhsa_next_free_sgpr 16
		.amdhsa_accum_offset 20
		.amdhsa_reserve_vcc 1
		.amdhsa_reserve_flat_scratch 0
		.amdhsa_float_round_mode_32 0
		.amdhsa_float_round_mode_16_64 0
		.amdhsa_float_denorm_mode_32 3
		.amdhsa_float_denorm_mode_16_64 3
		.amdhsa_dx10_clamp 1
		.amdhsa_ieee_mode 1
		.amdhsa_fp16_overflow 0
		.amdhsa_tg_split 0
		.amdhsa_exception_fp_ieee_invalid_op 0
		.amdhsa_exception_fp_denorm_src 0
		.amdhsa_exception_fp_ieee_div_zero 0
		.amdhsa_exception_fp_ieee_overflow 0
		.amdhsa_exception_fp_ieee_underflow 0
		.amdhsa_exception_fp_ieee_inexact 0
		.amdhsa_exception_int_div_zero 0
	.end_amdhsa_kernel
	.section	.text._ZN8rajaperf9polybench13poly_fdtd2d_4ILm32ELm8EEEvPdS2_S2_ll,"axG",@progbits,_ZN8rajaperf9polybench13poly_fdtd2d_4ILm32ELm8EEEvPdS2_S2_ll,comdat
.Lfunc_end3:
	.size	_ZN8rajaperf9polybench13poly_fdtd2d_4ILm32ELm8EEEvPdS2_S2_ll, .Lfunc_end3-_ZN8rajaperf9polybench13poly_fdtd2d_4ILm32ELm8EEEvPdS2_S2_ll
                                        ; -- End function
	.section	.AMDGPU.csdata,"",@progbits
; Kernel info:
; codeLenInByte = 380
; NumSgprs: 20
; NumVgprs: 17
; NumAgprs: 0
; TotalNumVgprs: 17
; ScratchSize: 0
; MemoryBound: 0
; FloatMode: 240
; IeeeMode: 1
; LDSByteSize: 0 bytes/workgroup (compile time only)
; SGPRBlocks: 2
; VGPRBlocks: 2
; NumSGPRsForWavesPerEU: 20
; NumVGPRsForWavesPerEU: 17
; AccumOffset: 20
; Occupancy: 8
; WaveLimiterHint : 0
; COMPUTE_PGM_RSRC2:SCRATCH_EN: 0
; COMPUTE_PGM_RSRC2:USER_SGPR: 6
; COMPUTE_PGM_RSRC2:TRAP_HANDLER: 0
; COMPUTE_PGM_RSRC2:TGID_X_EN: 1
; COMPUTE_PGM_RSRC2:TGID_Y_EN: 1
; COMPUTE_PGM_RSRC2:TGID_Z_EN: 0
; COMPUTE_PGM_RSRC2:TIDIG_COMP_CNT: 1
; COMPUTE_PGM_RSRC3_GFX90A:ACCUM_OFFSET: 4
; COMPUTE_PGM_RSRC3_GFX90A:TG_SPLIT: 0
	.section	.text._ZN8rajaperf9polybench17poly_fdtd2d_1_lamILm256EZNS0_17POLYBENCH_FDTD_2D17runHipVariantImplILm256EEEvNS_9VariantIDEEUllE_EEvlT0_,"axG",@progbits,_ZN8rajaperf9polybench17poly_fdtd2d_1_lamILm256EZNS0_17POLYBENCH_FDTD_2D17runHipVariantImplILm256EEEvNS_9VariantIDEEUllE_EEvlT0_,comdat
	.protected	_ZN8rajaperf9polybench17poly_fdtd2d_1_lamILm256EZNS0_17POLYBENCH_FDTD_2D17runHipVariantImplILm256EEEvNS_9VariantIDEEUllE_EEvlT0_ ; -- Begin function _ZN8rajaperf9polybench17poly_fdtd2d_1_lamILm256EZNS0_17POLYBENCH_FDTD_2D17runHipVariantImplILm256EEEvNS_9VariantIDEEUllE_EEvlT0_
	.globl	_ZN8rajaperf9polybench17poly_fdtd2d_1_lamILm256EZNS0_17POLYBENCH_FDTD_2D17runHipVariantImplILm256EEEvNS_9VariantIDEEUllE_EEvlT0_
	.p2align	8
	.type	_ZN8rajaperf9polybench17poly_fdtd2d_1_lamILm256EZNS0_17POLYBENCH_FDTD_2D17runHipVariantImplILm256EEEvNS_9VariantIDEEUllE_EEvlT0_,@function
_ZN8rajaperf9polybench17poly_fdtd2d_1_lamILm256EZNS0_17POLYBENCH_FDTD_2D17runHipVariantImplILm256EEEvNS_9VariantIDEEUllE_EEvlT0_: ; @_ZN8rajaperf9polybench17poly_fdtd2d_1_lamILm256EZNS0_17POLYBENCH_FDTD_2D17runHipVariantImplILm256EEEvNS_9VariantIDEEUllE_EEvlT0_
; %bb.0:
	s_load_dwordx2 s[0:1], s[4:5], 0x0
	s_mov_b32 s7, 0
	s_lshl_b64 s[2:3], s[6:7], 8
	v_or_b32_e32 v0, s2, v0
	v_mov_b32_e32 v1, s3
	s_waitcnt lgkmcnt(0)
	v_cmp_gt_i64_e32 vcc, s[0:1], v[0:1]
	s_and_saveexec_b64 s[0:1], vcc
	s_cbranch_execz .LBB4_2
; %bb.1:
	s_load_dwordx2 s[6:7], s[4:5], 0x8
	s_load_dwordx4 s[0:3], s[4:5], 0x18
	v_lshlrev_b64 v[0:1], 3, v[0:1]
	s_waitcnt lgkmcnt(0)
	v_mov_b32_e32 v2, s7
	s_lshl_b64 s[2:3], s[2:3], 3
	s_add_u32 s0, s0, s2
	s_addc_u32 s1, s1, s3
	s_load_dwordx2 s[0:1], s[0:1], 0x0
	v_add_co_u32_e32 v0, vcc, s6, v0
	v_addc_co_u32_e32 v1, vcc, v2, v1, vcc
	s_waitcnt lgkmcnt(0)
	v_pk_mov_b32 v[2:3], s[0:1], s[0:1] op_sel:[0,1]
	global_store_dwordx2 v[0:1], v[2:3], off
.LBB4_2:
	s_endpgm
	.section	.rodata,"a",@progbits
	.p2align	6, 0x0
	.amdhsa_kernel _ZN8rajaperf9polybench17poly_fdtd2d_1_lamILm256EZNS0_17POLYBENCH_FDTD_2D17runHipVariantImplILm256EEEvNS_9VariantIDEEUllE_EEvlT0_
		.amdhsa_group_segment_fixed_size 0
		.amdhsa_private_segment_fixed_size 0
		.amdhsa_kernarg_size 40
		.amdhsa_user_sgpr_count 6
		.amdhsa_user_sgpr_private_segment_buffer 1
		.amdhsa_user_sgpr_dispatch_ptr 0
		.amdhsa_user_sgpr_queue_ptr 0
		.amdhsa_user_sgpr_kernarg_segment_ptr 1
		.amdhsa_user_sgpr_dispatch_id 0
		.amdhsa_user_sgpr_flat_scratch_init 0
		.amdhsa_user_sgpr_kernarg_preload_length 0
		.amdhsa_user_sgpr_kernarg_preload_offset 0
		.amdhsa_user_sgpr_private_segment_size 0
		.amdhsa_uses_dynamic_stack 0
		.amdhsa_system_sgpr_private_segment_wavefront_offset 0
		.amdhsa_system_sgpr_workgroup_id_x 1
		.amdhsa_system_sgpr_workgroup_id_y 0
		.amdhsa_system_sgpr_workgroup_id_z 0
		.amdhsa_system_sgpr_workgroup_info 0
		.amdhsa_system_vgpr_workitem_id 0
		.amdhsa_next_free_vgpr 4
		.amdhsa_next_free_sgpr 8
		.amdhsa_accum_offset 4
		.amdhsa_reserve_vcc 1
		.amdhsa_reserve_flat_scratch 0
		.amdhsa_float_round_mode_32 0
		.amdhsa_float_round_mode_16_64 0
		.amdhsa_float_denorm_mode_32 3
		.amdhsa_float_denorm_mode_16_64 3
		.amdhsa_dx10_clamp 1
		.amdhsa_ieee_mode 1
		.amdhsa_fp16_overflow 0
		.amdhsa_tg_split 0
		.amdhsa_exception_fp_ieee_invalid_op 0
		.amdhsa_exception_fp_denorm_src 0
		.amdhsa_exception_fp_ieee_div_zero 0
		.amdhsa_exception_fp_ieee_overflow 0
		.amdhsa_exception_fp_ieee_underflow 0
		.amdhsa_exception_fp_ieee_inexact 0
		.amdhsa_exception_int_div_zero 0
	.end_amdhsa_kernel
	.section	.text._ZN8rajaperf9polybench17poly_fdtd2d_1_lamILm256EZNS0_17POLYBENCH_FDTD_2D17runHipVariantImplILm256EEEvNS_9VariantIDEEUllE_EEvlT0_,"axG",@progbits,_ZN8rajaperf9polybench17poly_fdtd2d_1_lamILm256EZNS0_17POLYBENCH_FDTD_2D17runHipVariantImplILm256EEEvNS_9VariantIDEEUllE_EEvlT0_,comdat
.Lfunc_end4:
	.size	_ZN8rajaperf9polybench17poly_fdtd2d_1_lamILm256EZNS0_17POLYBENCH_FDTD_2D17runHipVariantImplILm256EEEvNS_9VariantIDEEUllE_EEvlT0_, .Lfunc_end4-_ZN8rajaperf9polybench17poly_fdtd2d_1_lamILm256EZNS0_17POLYBENCH_FDTD_2D17runHipVariantImplILm256EEEvNS_9VariantIDEEUllE_EEvlT0_
                                        ; -- End function
	.section	.AMDGPU.csdata,"",@progbits
; Kernel info:
; codeLenInByte = 124
; NumSgprs: 12
; NumVgprs: 4
; NumAgprs: 0
; TotalNumVgprs: 4
; ScratchSize: 0
; MemoryBound: 0
; FloatMode: 240
; IeeeMode: 1
; LDSByteSize: 0 bytes/workgroup (compile time only)
; SGPRBlocks: 1
; VGPRBlocks: 0
; NumSGPRsForWavesPerEU: 12
; NumVGPRsForWavesPerEU: 4
; AccumOffset: 4
; Occupancy: 8
; WaveLimiterHint : 0
; COMPUTE_PGM_RSRC2:SCRATCH_EN: 0
; COMPUTE_PGM_RSRC2:USER_SGPR: 6
; COMPUTE_PGM_RSRC2:TRAP_HANDLER: 0
; COMPUTE_PGM_RSRC2:TGID_X_EN: 1
; COMPUTE_PGM_RSRC2:TGID_Y_EN: 0
; COMPUTE_PGM_RSRC2:TGID_Z_EN: 0
; COMPUTE_PGM_RSRC2:TIDIG_COMP_CNT: 0
; COMPUTE_PGM_RSRC3_GFX90A:ACCUM_OFFSET: 0
; COMPUTE_PGM_RSRC3_GFX90A:TG_SPLIT: 0
	.section	.text._ZN8rajaperf9polybench17poly_fdtd2d_2_lamILm32ELm8EZNS0_17POLYBENCH_FDTD_2D17runHipVariantImplILm256EEEvNS_9VariantIDEEUlllE_EEvllT1_,"axG",@progbits,_ZN8rajaperf9polybench17poly_fdtd2d_2_lamILm32ELm8EZNS0_17POLYBENCH_FDTD_2D17runHipVariantImplILm256EEEvNS_9VariantIDEEUlllE_EEvllT1_,comdat
	.protected	_ZN8rajaperf9polybench17poly_fdtd2d_2_lamILm32ELm8EZNS0_17POLYBENCH_FDTD_2D17runHipVariantImplILm256EEEvNS_9VariantIDEEUlllE_EEvllT1_ ; -- Begin function _ZN8rajaperf9polybench17poly_fdtd2d_2_lamILm32ELm8EZNS0_17POLYBENCH_FDTD_2D17runHipVariantImplILm256EEEvNS_9VariantIDEEUlllE_EEvllT1_
	.globl	_ZN8rajaperf9polybench17poly_fdtd2d_2_lamILm32ELm8EZNS0_17POLYBENCH_FDTD_2D17runHipVariantImplILm256EEEvNS_9VariantIDEEUlllE_EEvllT1_
	.p2align	8
	.type	_ZN8rajaperf9polybench17poly_fdtd2d_2_lamILm32ELm8EZNS0_17POLYBENCH_FDTD_2D17runHipVariantImplILm256EEEvNS_9VariantIDEEUlllE_EEvllT1_,@function
_ZN8rajaperf9polybench17poly_fdtd2d_2_lamILm32ELm8EZNS0_17POLYBENCH_FDTD_2D17runHipVariantImplILm256EEEvNS_9VariantIDEEUlllE_EEvllT1_: ; @_ZN8rajaperf9polybench17poly_fdtd2d_2_lamILm32ELm8EZNS0_17POLYBENCH_FDTD_2D17runHipVariantImplILm256EEEvNS_9VariantIDEEUlllE_EEvllT1_
; %bb.0:
	s_mov_b32 s8, s7
	s_mov_b32 s9, 0
	s_load_dwordx4 s[0:3], s[4:5], 0x0
	s_lshl_b64 s[10:11], s[8:9], 3
	v_bfe_u32 v1, v0, 10, 10
	v_mov_b32_e32 v3, s11
	v_add_co_u32_e32 v2, vcc, s10, v1
	s_mov_b32 s7, s9
	v_addc_co_u32_e32 v3, vcc, 0, v3, vcc
	s_lshl_b64 s[6:7], s[6:7], 5
	v_and_b32_e32 v0, 0x3ff, v0
	v_mov_b32_e32 v1, s7
	v_add_co_u32_e32 v0, vcc, s6, v0
	v_addc_co_u32_e32 v1, vcc, 0, v1, vcc
	s_waitcnt lgkmcnt(0)
	v_cmp_gt_i64_e64 s[0:1], s[0:1], v[2:3]
	v_cmp_gt_i64_e64 s[2:3], s[2:3], v[0:1]
	v_cmp_ne_u64_e32 vcc, 0, v[2:3]
	s_and_b64 s[0:1], s[0:1], s[2:3]
	s_and_b64 s[0:1], s[0:1], vcc
	s_and_saveexec_b64 s[2:3], s[0:1]
	s_cbranch_execz .LBB5_2
; %bb.1:
	s_load_dwordx4 s[0:3], s[4:5], 0x10
	s_load_dwordx2 s[6:7], s[4:5], 0x20
	s_waitcnt lgkmcnt(0)
	v_mul_lo_u32 v6, s3, v2
	v_mul_lo_u32 v7, s2, v3
	v_mad_u64_u32 v[4:5], s[4:5], s2, v2, 0
	v_mad_u64_u32 v[2:3], s[4:5], s2, v2, v[0:1]
	v_add3_u32 v3, v6, v3, v7
	v_lshlrev_b64 v[2:3], 3, v[2:3]
	v_add3_u32 v5, v5, v7, v6
	v_mov_b32_e32 v7, s1
	v_add_co_u32_e32 v6, vcc, s0, v2
	v_addc_co_u32_e32 v7, vcc, v7, v3, vcc
	v_mov_b32_e32 v8, s7
	v_add_co_u32_e32 v2, vcc, s6, v2
	v_addc_co_u32_e32 v3, vcc, v8, v3, vcc
	v_mov_b32_e32 v9, s3
	v_subrev_co_u32_e32 v4, vcc, s2, v4
	v_subb_co_u32_e32 v5, vcc, v5, v9, vcc
	v_lshlrev_b64 v[4:5], 3, v[4:5]
	v_add_co_u32_e32 v4, vcc, s6, v4
	v_addc_co_u32_e32 v5, vcc, v8, v5, vcc
	v_lshlrev_b64 v[0:1], 3, v[0:1]
	v_add_co_u32_e32 v0, vcc, v4, v0
	v_addc_co_u32_e32 v1, vcc, v5, v1, vcc
	global_load_dwordx2 v[4:5], v[2:3], off
	global_load_dwordx2 v[8:9], v[0:1], off
	;; [unrolled: 1-line block ×3, first 2 shown]
	s_waitcnt vmcnt(1)
	v_add_f64 v[0:1], v[4:5], -v[8:9]
	s_waitcnt vmcnt(0)
	v_fmac_f64_e32 v[10:11], -0.5, v[0:1]
	global_store_dwordx2 v[6:7], v[10:11], off
.LBB5_2:
	s_endpgm
	.section	.rodata,"a",@progbits
	.p2align	6, 0x0
	.amdhsa_kernel _ZN8rajaperf9polybench17poly_fdtd2d_2_lamILm32ELm8EZNS0_17POLYBENCH_FDTD_2D17runHipVariantImplILm256EEEvNS_9VariantIDEEUlllE_EEvllT1_
		.amdhsa_group_segment_fixed_size 0
		.amdhsa_private_segment_fixed_size 0
		.amdhsa_kernarg_size 40
		.amdhsa_user_sgpr_count 6
		.amdhsa_user_sgpr_private_segment_buffer 1
		.amdhsa_user_sgpr_dispatch_ptr 0
		.amdhsa_user_sgpr_queue_ptr 0
		.amdhsa_user_sgpr_kernarg_segment_ptr 1
		.amdhsa_user_sgpr_dispatch_id 0
		.amdhsa_user_sgpr_flat_scratch_init 0
		.amdhsa_user_sgpr_kernarg_preload_length 0
		.amdhsa_user_sgpr_kernarg_preload_offset 0
		.amdhsa_user_sgpr_private_segment_size 0
		.amdhsa_uses_dynamic_stack 0
		.amdhsa_system_sgpr_private_segment_wavefront_offset 0
		.amdhsa_system_sgpr_workgroup_id_x 1
		.amdhsa_system_sgpr_workgroup_id_y 1
		.amdhsa_system_sgpr_workgroup_id_z 0
		.amdhsa_system_sgpr_workgroup_info 0
		.amdhsa_system_vgpr_workitem_id 1
		.amdhsa_next_free_vgpr 12
		.amdhsa_next_free_sgpr 12
		.amdhsa_accum_offset 12
		.amdhsa_reserve_vcc 1
		.amdhsa_reserve_flat_scratch 0
		.amdhsa_float_round_mode_32 0
		.amdhsa_float_round_mode_16_64 0
		.amdhsa_float_denorm_mode_32 3
		.amdhsa_float_denorm_mode_16_64 3
		.amdhsa_dx10_clamp 1
		.amdhsa_ieee_mode 1
		.amdhsa_fp16_overflow 0
		.amdhsa_tg_split 0
		.amdhsa_exception_fp_ieee_invalid_op 0
		.amdhsa_exception_fp_denorm_src 0
		.amdhsa_exception_fp_ieee_div_zero 0
		.amdhsa_exception_fp_ieee_overflow 0
		.amdhsa_exception_fp_ieee_underflow 0
		.amdhsa_exception_fp_ieee_inexact 0
		.amdhsa_exception_int_div_zero 0
	.end_amdhsa_kernel
	.section	.text._ZN8rajaperf9polybench17poly_fdtd2d_2_lamILm32ELm8EZNS0_17POLYBENCH_FDTD_2D17runHipVariantImplILm256EEEvNS_9VariantIDEEUlllE_EEvllT1_,"axG",@progbits,_ZN8rajaperf9polybench17poly_fdtd2d_2_lamILm32ELm8EZNS0_17POLYBENCH_FDTD_2D17runHipVariantImplILm256EEEvNS_9VariantIDEEUlllE_EEvllT1_,comdat
.Lfunc_end5:
	.size	_ZN8rajaperf9polybench17poly_fdtd2d_2_lamILm32ELm8EZNS0_17POLYBENCH_FDTD_2D17runHipVariantImplILm256EEEvNS_9VariantIDEEUlllE_EEvllT1_, .Lfunc_end5-_ZN8rajaperf9polybench17poly_fdtd2d_2_lamILm32ELm8EZNS0_17POLYBENCH_FDTD_2D17runHipVariantImplILm256EEEvNS_9VariantIDEEUlllE_EEvllT1_
                                        ; -- End function
	.section	.AMDGPU.csdata,"",@progbits
; Kernel info:
; codeLenInByte = 308
; NumSgprs: 16
; NumVgprs: 12
; NumAgprs: 0
; TotalNumVgprs: 12
; ScratchSize: 0
; MemoryBound: 0
; FloatMode: 240
; IeeeMode: 1
; LDSByteSize: 0 bytes/workgroup (compile time only)
; SGPRBlocks: 1
; VGPRBlocks: 1
; NumSGPRsForWavesPerEU: 16
; NumVGPRsForWavesPerEU: 12
; AccumOffset: 12
; Occupancy: 8
; WaveLimiterHint : 0
; COMPUTE_PGM_RSRC2:SCRATCH_EN: 0
; COMPUTE_PGM_RSRC2:USER_SGPR: 6
; COMPUTE_PGM_RSRC2:TRAP_HANDLER: 0
; COMPUTE_PGM_RSRC2:TGID_X_EN: 1
; COMPUTE_PGM_RSRC2:TGID_Y_EN: 1
; COMPUTE_PGM_RSRC2:TGID_Z_EN: 0
; COMPUTE_PGM_RSRC2:TIDIG_COMP_CNT: 1
; COMPUTE_PGM_RSRC3_GFX90A:ACCUM_OFFSET: 2
; COMPUTE_PGM_RSRC3_GFX90A:TG_SPLIT: 0
	.section	.text._ZN8rajaperf9polybench17poly_fdtd2d_3_lamILm32ELm8EZNS0_17POLYBENCH_FDTD_2D17runHipVariantImplILm256EEEvNS_9VariantIDEEUlllE0_EEvllT1_,"axG",@progbits,_ZN8rajaperf9polybench17poly_fdtd2d_3_lamILm32ELm8EZNS0_17POLYBENCH_FDTD_2D17runHipVariantImplILm256EEEvNS_9VariantIDEEUlllE0_EEvllT1_,comdat
	.protected	_ZN8rajaperf9polybench17poly_fdtd2d_3_lamILm32ELm8EZNS0_17POLYBENCH_FDTD_2D17runHipVariantImplILm256EEEvNS_9VariantIDEEUlllE0_EEvllT1_ ; -- Begin function _ZN8rajaperf9polybench17poly_fdtd2d_3_lamILm32ELm8EZNS0_17POLYBENCH_FDTD_2D17runHipVariantImplILm256EEEvNS_9VariantIDEEUlllE0_EEvllT1_
	.globl	_ZN8rajaperf9polybench17poly_fdtd2d_3_lamILm32ELm8EZNS0_17POLYBENCH_FDTD_2D17runHipVariantImplILm256EEEvNS_9VariantIDEEUlllE0_EEvllT1_
	.p2align	8
	.type	_ZN8rajaperf9polybench17poly_fdtd2d_3_lamILm32ELm8EZNS0_17POLYBENCH_FDTD_2D17runHipVariantImplILm256EEEvNS_9VariantIDEEUlllE0_EEvllT1_,@function
_ZN8rajaperf9polybench17poly_fdtd2d_3_lamILm32ELm8EZNS0_17POLYBENCH_FDTD_2D17runHipVariantImplILm256EEEvNS_9VariantIDEEUlllE0_EEvllT1_: ; @_ZN8rajaperf9polybench17poly_fdtd2d_3_lamILm32ELm8EZNS0_17POLYBENCH_FDTD_2D17runHipVariantImplILm256EEEvNS_9VariantIDEEUlllE0_EEvllT1_
; %bb.0:
	s_mov_b32 s8, s7
	s_mov_b32 s9, 0
	s_load_dwordx4 s[0:3], s[4:5], 0x0
	s_lshl_b64 s[10:11], s[8:9], 3
	v_bfe_u32 v1, v0, 10, 10
	v_mov_b32_e32 v3, s11
	v_add_co_u32_e32 v2, vcc, s10, v1
	s_mov_b32 s7, s9
	v_addc_co_u32_e32 v3, vcc, 0, v3, vcc
	s_lshl_b64 s[6:7], s[6:7], 5
	v_and_b32_e32 v0, 0x3ff, v0
	v_mov_b32_e32 v1, s7
	v_add_co_u32_e32 v0, vcc, s6, v0
	v_addc_co_u32_e32 v1, vcc, 0, v1, vcc
	s_waitcnt lgkmcnt(0)
	v_cmp_gt_i64_e32 vcc, s[0:1], v[2:3]
	v_cmp_ne_u64_e64 s[0:1], 0, v[0:1]
	v_cmp_gt_i64_e64 s[2:3], s[2:3], v[0:1]
	s_and_b64 s[0:1], s[0:1], s[2:3]
	s_and_b64 s[0:1], vcc, s[0:1]
	s_and_saveexec_b64 s[2:3], s[0:1]
	s_cbranch_execz .LBB6_2
; %bb.1:
	s_load_dwordx4 s[0:3], s[4:5], 0x10
	s_load_dwordx2 s[6:7], s[4:5], 0x20
	v_lshlrev_b64 v[0:1], 3, v[0:1]
	s_waitcnt lgkmcnt(0)
	v_mul_lo_u32 v4, s3, v2
	v_mul_lo_u32 v5, s2, v3
	v_mad_u64_u32 v[2:3], s[2:3], s2, v2, 0
	v_add3_u32 v3, v3, v5, v4
	v_lshlrev_b64 v[2:3], 3, v[2:3]
	v_mov_b32_e32 v4, s1
	v_add_co_u32_e32 v5, vcc, s0, v2
	v_addc_co_u32_e32 v6, vcc, v4, v3, vcc
	v_add_co_u32_e32 v4, vcc, v5, v0
	v_addc_co_u32_e32 v5, vcc, v6, v1, vcc
	v_mov_b32_e32 v6, s7
	v_add_co_u32_e32 v0, vcc, s6, v0
	v_addc_co_u32_e32 v1, vcc, v6, v1, vcc
	v_add_co_u32_e32 v6, vcc, v0, v2
	v_addc_co_u32_e32 v7, vcc, v1, v3, vcc
	global_load_dwordx4 v[0:3], v[6:7], off offset:-8
	global_load_dwordx2 v[8:9], v[4:5], off
	s_waitcnt vmcnt(1)
	v_add_f64 v[0:1], v[2:3], -v[0:1]
	s_waitcnt vmcnt(0)
	v_fmac_f64_e32 v[8:9], -0.5, v[0:1]
	global_store_dwordx2 v[4:5], v[8:9], off
.LBB6_2:
	s_endpgm
	.section	.rodata,"a",@progbits
	.p2align	6, 0x0
	.amdhsa_kernel _ZN8rajaperf9polybench17poly_fdtd2d_3_lamILm32ELm8EZNS0_17POLYBENCH_FDTD_2D17runHipVariantImplILm256EEEvNS_9VariantIDEEUlllE0_EEvllT1_
		.amdhsa_group_segment_fixed_size 0
		.amdhsa_private_segment_fixed_size 0
		.amdhsa_kernarg_size 40
		.amdhsa_user_sgpr_count 6
		.amdhsa_user_sgpr_private_segment_buffer 1
		.amdhsa_user_sgpr_dispatch_ptr 0
		.amdhsa_user_sgpr_queue_ptr 0
		.amdhsa_user_sgpr_kernarg_segment_ptr 1
		.amdhsa_user_sgpr_dispatch_id 0
		.amdhsa_user_sgpr_flat_scratch_init 0
		.amdhsa_user_sgpr_kernarg_preload_length 0
		.amdhsa_user_sgpr_kernarg_preload_offset 0
		.amdhsa_user_sgpr_private_segment_size 0
		.amdhsa_uses_dynamic_stack 0
		.amdhsa_system_sgpr_private_segment_wavefront_offset 0
		.amdhsa_system_sgpr_workgroup_id_x 1
		.amdhsa_system_sgpr_workgroup_id_y 1
		.amdhsa_system_sgpr_workgroup_id_z 0
		.amdhsa_system_sgpr_workgroup_info 0
		.amdhsa_system_vgpr_workitem_id 1
		.amdhsa_next_free_vgpr 10
		.amdhsa_next_free_sgpr 12
		.amdhsa_accum_offset 12
		.amdhsa_reserve_vcc 1
		.amdhsa_reserve_flat_scratch 0
		.amdhsa_float_round_mode_32 0
		.amdhsa_float_round_mode_16_64 0
		.amdhsa_float_denorm_mode_32 3
		.amdhsa_float_denorm_mode_16_64 3
		.amdhsa_dx10_clamp 1
		.amdhsa_ieee_mode 1
		.amdhsa_fp16_overflow 0
		.amdhsa_tg_split 0
		.amdhsa_exception_fp_ieee_invalid_op 0
		.amdhsa_exception_fp_denorm_src 0
		.amdhsa_exception_fp_ieee_div_zero 0
		.amdhsa_exception_fp_ieee_overflow 0
		.amdhsa_exception_fp_ieee_underflow 0
		.amdhsa_exception_fp_ieee_inexact 0
		.amdhsa_exception_int_div_zero 0
	.end_amdhsa_kernel
	.section	.text._ZN8rajaperf9polybench17poly_fdtd2d_3_lamILm32ELm8EZNS0_17POLYBENCH_FDTD_2D17runHipVariantImplILm256EEEvNS_9VariantIDEEUlllE0_EEvllT1_,"axG",@progbits,_ZN8rajaperf9polybench17poly_fdtd2d_3_lamILm32ELm8EZNS0_17POLYBENCH_FDTD_2D17runHipVariantImplILm256EEEvNS_9VariantIDEEUlllE0_EEvllT1_,comdat
.Lfunc_end6:
	.size	_ZN8rajaperf9polybench17poly_fdtd2d_3_lamILm32ELm8EZNS0_17POLYBENCH_FDTD_2D17runHipVariantImplILm256EEEvNS_9VariantIDEEUlllE0_EEvllT1_, .Lfunc_end6-_ZN8rajaperf9polybench17poly_fdtd2d_3_lamILm32ELm8EZNS0_17POLYBENCH_FDTD_2D17runHipVariantImplILm256EEEvNS_9VariantIDEEUlllE0_EEvllT1_
                                        ; -- End function
	.section	.AMDGPU.csdata,"",@progbits
; Kernel info:
; codeLenInByte = 264
; NumSgprs: 16
; NumVgprs: 10
; NumAgprs: 0
; TotalNumVgprs: 10
; ScratchSize: 0
; MemoryBound: 0
; FloatMode: 240
; IeeeMode: 1
; LDSByteSize: 0 bytes/workgroup (compile time only)
; SGPRBlocks: 1
; VGPRBlocks: 1
; NumSGPRsForWavesPerEU: 16
; NumVGPRsForWavesPerEU: 10
; AccumOffset: 12
; Occupancy: 8
; WaveLimiterHint : 0
; COMPUTE_PGM_RSRC2:SCRATCH_EN: 0
; COMPUTE_PGM_RSRC2:USER_SGPR: 6
; COMPUTE_PGM_RSRC2:TRAP_HANDLER: 0
; COMPUTE_PGM_RSRC2:TGID_X_EN: 1
; COMPUTE_PGM_RSRC2:TGID_Y_EN: 1
; COMPUTE_PGM_RSRC2:TGID_Z_EN: 0
; COMPUTE_PGM_RSRC2:TIDIG_COMP_CNT: 1
; COMPUTE_PGM_RSRC3_GFX90A:ACCUM_OFFSET: 2
; COMPUTE_PGM_RSRC3_GFX90A:TG_SPLIT: 0
	.section	.text._ZN8rajaperf9polybench17poly_fdtd2d_4_lamILm32ELm8EZNS0_17POLYBENCH_FDTD_2D17runHipVariantImplILm256EEEvNS_9VariantIDEEUlllE1_EEvllT1_,"axG",@progbits,_ZN8rajaperf9polybench17poly_fdtd2d_4_lamILm32ELm8EZNS0_17POLYBENCH_FDTD_2D17runHipVariantImplILm256EEEvNS_9VariantIDEEUlllE1_EEvllT1_,comdat
	.protected	_ZN8rajaperf9polybench17poly_fdtd2d_4_lamILm32ELm8EZNS0_17POLYBENCH_FDTD_2D17runHipVariantImplILm256EEEvNS_9VariantIDEEUlllE1_EEvllT1_ ; -- Begin function _ZN8rajaperf9polybench17poly_fdtd2d_4_lamILm32ELm8EZNS0_17POLYBENCH_FDTD_2D17runHipVariantImplILm256EEEvNS_9VariantIDEEUlllE1_EEvllT1_
	.globl	_ZN8rajaperf9polybench17poly_fdtd2d_4_lamILm32ELm8EZNS0_17POLYBENCH_FDTD_2D17runHipVariantImplILm256EEEvNS_9VariantIDEEUlllE1_EEvllT1_
	.p2align	8
	.type	_ZN8rajaperf9polybench17poly_fdtd2d_4_lamILm32ELm8EZNS0_17POLYBENCH_FDTD_2D17runHipVariantImplILm256EEEvNS_9VariantIDEEUlllE1_EEvllT1_,@function
_ZN8rajaperf9polybench17poly_fdtd2d_4_lamILm32ELm8EZNS0_17POLYBENCH_FDTD_2D17runHipVariantImplILm256EEEvNS_9VariantIDEEUlllE1_EEvllT1_: ; @_ZN8rajaperf9polybench17poly_fdtd2d_4_lamILm32ELm8EZNS0_17POLYBENCH_FDTD_2D17runHipVariantImplILm256EEEvNS_9VariantIDEEUlllE1_EEvllT1_
; %bb.0:
	s_load_dwordx4 s[0:3], s[4:5], 0x0
	s_mov_b32 s8, s7
	s_mov_b32 s9, 0
	s_lshl_b64 s[10:11], s[8:9], 3
	v_bfe_u32 v1, v0, 10, 10
	v_mov_b32_e32 v3, s11
	v_add_co_u32_e32 v2, vcc, s10, v1
	s_mov_b32 s7, s9
	v_addc_co_u32_e32 v3, vcc, 0, v3, vcc
	s_lshl_b64 s[6:7], s[6:7], 5
	v_and_b32_e32 v0, 0x3ff, v0
	v_mov_b32_e32 v1, s7
	v_add_co_u32_e32 v0, vcc, s6, v0
	s_waitcnt lgkmcnt(0)
	s_add_u32 s0, s0, -1
	v_addc_co_u32_e32 v1, vcc, 0, v1, vcc
	s_addc_u32 s1, s1, -1
	v_cmp_gt_i64_e32 vcc, s[0:1], v[2:3]
	s_add_u32 s0, s2, -1
	s_addc_u32 s1, s3, -1
	v_cmp_gt_i64_e64 s[0:1], s[0:1], v[0:1]
	s_and_b64 s[0:1], vcc, s[0:1]
	s_and_saveexec_b64 s[2:3], s[0:1]
	s_cbranch_execz .LBB7_2
; %bb.1:
	s_load_dwordx8 s[0:7], s[4:5], 0x10
	s_waitcnt lgkmcnt(0)
	v_mad_u64_u32 v[4:5], s[8:9], s2, v2, v[0:1]
	v_mul_lo_u32 v12, s2, v3
	v_mul_lo_u32 v13, s3, v2
	v_add3_u32 v5, v13, v5, v12
	v_lshlrev_b64 v[10:11], 3, v[4:5]
	v_mov_b32_e32 v8, s2
	v_mov_b32_e32 v9, s3
	;; [unrolled: 1-line block ×3, first 2 shown]
	v_add_co_u32_e32 v4, vcc, s4, v10
	v_addc_co_u32_e32 v5, vcc, v3, v11, vcc
	v_mad_u64_u32 v[2:3], s[2:3], s2, v2, v[8:9]
	v_add3_u32 v3, v13, v3, v12
	v_lshlrev_b64 v[2:3], 3, v[2:3]
	v_mov_b32_e32 v8, s7
	v_add_co_u32_e32 v2, vcc, s6, v2
	v_addc_co_u32_e32 v3, vcc, v8, v3, vcc
	v_lshlrev_b64 v[0:1], 3, v[0:1]
	v_add_co_u32_e32 v0, vcc, v2, v0
	v_addc_co_u32_e32 v1, vcc, v3, v1, vcc
	v_mov_b32_e32 v3, s7
	v_add_co_u32_e32 v2, vcc, s6, v10
	global_load_dwordx4 v[4:7], v[4:5], off
	v_addc_co_u32_e32 v3, vcc, v3, v11, vcc
	v_mov_b32_e32 v14, s1
	global_load_dwordx2 v[8:9], v[0:1], off
	global_load_dwordx2 v[12:13], v[2:3], off
	v_add_co_u32_e32 v0, vcc, s0, v10
	v_addc_co_u32_e32 v1, vcc, v14, v11, vcc
	global_load_dwordx2 v[2:3], v[0:1], off
	s_mov_b32 s0, 0x66666666
	s_mov_b32 s1, 0xbfe66666
	s_waitcnt vmcnt(3)
	v_add_f64 v[4:5], v[6:7], -v[4:5]
	s_waitcnt vmcnt(2)
	v_add_f64 v[4:5], v[4:5], v[8:9]
	s_waitcnt vmcnt(1)
	v_add_f64 v[4:5], v[4:5], -v[12:13]
	s_waitcnt vmcnt(0)
	v_fmac_f64_e32 v[2:3], s[0:1], v[4:5]
	global_store_dwordx2 v[0:1], v[2:3], off
.LBB7_2:
	s_endpgm
	.section	.rodata,"a",@progbits
	.p2align	6, 0x0
	.amdhsa_kernel _ZN8rajaperf9polybench17poly_fdtd2d_4_lamILm32ELm8EZNS0_17POLYBENCH_FDTD_2D17runHipVariantImplILm256EEEvNS_9VariantIDEEUlllE1_EEvllT1_
		.amdhsa_group_segment_fixed_size 0
		.amdhsa_private_segment_fixed_size 0
		.amdhsa_kernarg_size 48
		.amdhsa_user_sgpr_count 6
		.amdhsa_user_sgpr_private_segment_buffer 1
		.amdhsa_user_sgpr_dispatch_ptr 0
		.amdhsa_user_sgpr_queue_ptr 0
		.amdhsa_user_sgpr_kernarg_segment_ptr 1
		.amdhsa_user_sgpr_dispatch_id 0
		.amdhsa_user_sgpr_flat_scratch_init 0
		.amdhsa_user_sgpr_kernarg_preload_length 0
		.amdhsa_user_sgpr_kernarg_preload_offset 0
		.amdhsa_user_sgpr_private_segment_size 0
		.amdhsa_uses_dynamic_stack 0
		.amdhsa_system_sgpr_private_segment_wavefront_offset 0
		.amdhsa_system_sgpr_workgroup_id_x 1
		.amdhsa_system_sgpr_workgroup_id_y 1
		.amdhsa_system_sgpr_workgroup_id_z 0
		.amdhsa_system_sgpr_workgroup_info 0
		.amdhsa_system_vgpr_workitem_id 1
		.amdhsa_next_free_vgpr 15
		.amdhsa_next_free_sgpr 12
		.amdhsa_accum_offset 16
		.amdhsa_reserve_vcc 1
		.amdhsa_reserve_flat_scratch 0
		.amdhsa_float_round_mode_32 0
		.amdhsa_float_round_mode_16_64 0
		.amdhsa_float_denorm_mode_32 3
		.amdhsa_float_denorm_mode_16_64 3
		.amdhsa_dx10_clamp 1
		.amdhsa_ieee_mode 1
		.amdhsa_fp16_overflow 0
		.amdhsa_tg_split 0
		.amdhsa_exception_fp_ieee_invalid_op 0
		.amdhsa_exception_fp_denorm_src 0
		.amdhsa_exception_fp_ieee_div_zero 0
		.amdhsa_exception_fp_ieee_overflow 0
		.amdhsa_exception_fp_ieee_underflow 0
		.amdhsa_exception_fp_ieee_inexact 0
		.amdhsa_exception_int_div_zero 0
	.end_amdhsa_kernel
	.section	.text._ZN8rajaperf9polybench17poly_fdtd2d_4_lamILm32ELm8EZNS0_17POLYBENCH_FDTD_2D17runHipVariantImplILm256EEEvNS_9VariantIDEEUlllE1_EEvllT1_,"axG",@progbits,_ZN8rajaperf9polybench17poly_fdtd2d_4_lamILm32ELm8EZNS0_17POLYBENCH_FDTD_2D17runHipVariantImplILm256EEEvNS_9VariantIDEEUlllE1_EEvllT1_,comdat
.Lfunc_end7:
	.size	_ZN8rajaperf9polybench17poly_fdtd2d_4_lamILm32ELm8EZNS0_17POLYBENCH_FDTD_2D17runHipVariantImplILm256EEEvNS_9VariantIDEEUlllE1_EEvllT1_, .Lfunc_end7-_ZN8rajaperf9polybench17poly_fdtd2d_4_lamILm32ELm8EZNS0_17POLYBENCH_FDTD_2D17runHipVariantImplILm256EEEvNS_9VariantIDEEUlllE1_EEvllT1_
                                        ; -- End function
	.section	.AMDGPU.csdata,"",@progbits
; Kernel info:
; codeLenInByte = 364
; NumSgprs: 16
; NumVgprs: 15
; NumAgprs: 0
; TotalNumVgprs: 15
; ScratchSize: 0
; MemoryBound: 0
; FloatMode: 240
; IeeeMode: 1
; LDSByteSize: 0 bytes/workgroup (compile time only)
; SGPRBlocks: 1
; VGPRBlocks: 1
; NumSGPRsForWavesPerEU: 16
; NumVGPRsForWavesPerEU: 15
; AccumOffset: 16
; Occupancy: 8
; WaveLimiterHint : 0
; COMPUTE_PGM_RSRC2:SCRATCH_EN: 0
; COMPUTE_PGM_RSRC2:USER_SGPR: 6
; COMPUTE_PGM_RSRC2:TRAP_HANDLER: 0
; COMPUTE_PGM_RSRC2:TGID_X_EN: 1
; COMPUTE_PGM_RSRC2:TGID_Y_EN: 1
; COMPUTE_PGM_RSRC2:TGID_Z_EN: 0
; COMPUTE_PGM_RSRC2:TIDIG_COMP_CNT: 1
; COMPUTE_PGM_RSRC3_GFX90A:ACCUM_OFFSET: 3
; COMPUTE_PGM_RSRC3_GFX90A:TG_SPLIT: 0
	.section	.text._ZN4RAJA6policy3hip4impl18forallp_hip_kernelINS1_8hip_execINS_17iteration_mapping6DirectENS_3hip11IndexGlobalILNS_9named_dimE0ELi256ELi0EEENS7_40AvoidDeviceMaxThreadOccupancyConcretizerINS7_34FractionOffsetOccupancyConcretizerINS_8FractionImLm1ELm1EEELln1EEEEELb1EEENS_9Iterators16numeric_iteratorIllPlEEZN8rajaperf9polybench17POLYBENCH_FDTD_2D17runHipVariantImplILm256EEEvNSM_9VariantIDEEUllE0_lNS_4expt15ForallParamPackIJEEES6_SA_TnNSt9enable_ifIXaasr3std10is_base_ofINS5_10DirectBaseET4_EE5valuegtsrT5_10block_sizeLi0EEmE4typeELm256EEEvT1_T0_T2_T3_,"axG",@progbits,_ZN4RAJA6policy3hip4impl18forallp_hip_kernelINS1_8hip_execINS_17iteration_mapping6DirectENS_3hip11IndexGlobalILNS_9named_dimE0ELi256ELi0EEENS7_40AvoidDeviceMaxThreadOccupancyConcretizerINS7_34FractionOffsetOccupancyConcretizerINS_8FractionImLm1ELm1EEELln1EEEEELb1EEENS_9Iterators16numeric_iteratorIllPlEEZN8rajaperf9polybench17POLYBENCH_FDTD_2D17runHipVariantImplILm256EEEvNSM_9VariantIDEEUllE0_lNS_4expt15ForallParamPackIJEEES6_SA_TnNSt9enable_ifIXaasr3std10is_base_ofINS5_10DirectBaseET4_EE5valuegtsrT5_10block_sizeLi0EEmE4typeELm256EEEvT1_T0_T2_T3_,comdat
	.protected	_ZN4RAJA6policy3hip4impl18forallp_hip_kernelINS1_8hip_execINS_17iteration_mapping6DirectENS_3hip11IndexGlobalILNS_9named_dimE0ELi256ELi0EEENS7_40AvoidDeviceMaxThreadOccupancyConcretizerINS7_34FractionOffsetOccupancyConcretizerINS_8FractionImLm1ELm1EEELln1EEEEELb1EEENS_9Iterators16numeric_iteratorIllPlEEZN8rajaperf9polybench17POLYBENCH_FDTD_2D17runHipVariantImplILm256EEEvNSM_9VariantIDEEUllE0_lNS_4expt15ForallParamPackIJEEES6_SA_TnNSt9enable_ifIXaasr3std10is_base_ofINS5_10DirectBaseET4_EE5valuegtsrT5_10block_sizeLi0EEmE4typeELm256EEEvT1_T0_T2_T3_ ; -- Begin function _ZN4RAJA6policy3hip4impl18forallp_hip_kernelINS1_8hip_execINS_17iteration_mapping6DirectENS_3hip11IndexGlobalILNS_9named_dimE0ELi256ELi0EEENS7_40AvoidDeviceMaxThreadOccupancyConcretizerINS7_34FractionOffsetOccupancyConcretizerINS_8FractionImLm1ELm1EEELln1EEEEELb1EEENS_9Iterators16numeric_iteratorIllPlEEZN8rajaperf9polybench17POLYBENCH_FDTD_2D17runHipVariantImplILm256EEEvNSM_9VariantIDEEUllE0_lNS_4expt15ForallParamPackIJEEES6_SA_TnNSt9enable_ifIXaasr3std10is_base_ofINS5_10DirectBaseET4_EE5valuegtsrT5_10block_sizeLi0EEmE4typeELm256EEEvT1_T0_T2_T3_
	.globl	_ZN4RAJA6policy3hip4impl18forallp_hip_kernelINS1_8hip_execINS_17iteration_mapping6DirectENS_3hip11IndexGlobalILNS_9named_dimE0ELi256ELi0EEENS7_40AvoidDeviceMaxThreadOccupancyConcretizerINS7_34FractionOffsetOccupancyConcretizerINS_8FractionImLm1ELm1EEELln1EEEEELb1EEENS_9Iterators16numeric_iteratorIllPlEEZN8rajaperf9polybench17POLYBENCH_FDTD_2D17runHipVariantImplILm256EEEvNSM_9VariantIDEEUllE0_lNS_4expt15ForallParamPackIJEEES6_SA_TnNSt9enable_ifIXaasr3std10is_base_ofINS5_10DirectBaseET4_EE5valuegtsrT5_10block_sizeLi0EEmE4typeELm256EEEvT1_T0_T2_T3_
	.p2align	8
	.type	_ZN4RAJA6policy3hip4impl18forallp_hip_kernelINS1_8hip_execINS_17iteration_mapping6DirectENS_3hip11IndexGlobalILNS_9named_dimE0ELi256ELi0EEENS7_40AvoidDeviceMaxThreadOccupancyConcretizerINS7_34FractionOffsetOccupancyConcretizerINS_8FractionImLm1ELm1EEELln1EEEEELb1EEENS_9Iterators16numeric_iteratorIllPlEEZN8rajaperf9polybench17POLYBENCH_FDTD_2D17runHipVariantImplILm256EEEvNSM_9VariantIDEEUllE0_lNS_4expt15ForallParamPackIJEEES6_SA_TnNSt9enable_ifIXaasr3std10is_base_ofINS5_10DirectBaseET4_EE5valuegtsrT5_10block_sizeLi0EEmE4typeELm256EEEvT1_T0_T2_T3_,@function
_ZN4RAJA6policy3hip4impl18forallp_hip_kernelINS1_8hip_execINS_17iteration_mapping6DirectENS_3hip11IndexGlobalILNS_9named_dimE0ELi256ELi0EEENS7_40AvoidDeviceMaxThreadOccupancyConcretizerINS7_34FractionOffsetOccupancyConcretizerINS_8FractionImLm1ELm1EEELln1EEEEELb1EEENS_9Iterators16numeric_iteratorIllPlEEZN8rajaperf9polybench17POLYBENCH_FDTD_2D17runHipVariantImplILm256EEEvNSM_9VariantIDEEUllE0_lNS_4expt15ForallParamPackIJEEES6_SA_TnNSt9enable_ifIXaasr3std10is_base_ofINS5_10DirectBaseET4_EE5valuegtsrT5_10block_sizeLi0EEmE4typeELm256EEEvT1_T0_T2_T3_: ; @_ZN4RAJA6policy3hip4impl18forallp_hip_kernelINS1_8hip_execINS_17iteration_mapping6DirectENS_3hip11IndexGlobalILNS_9named_dimE0ELi256ELi0EEENS7_40AvoidDeviceMaxThreadOccupancyConcretizerINS7_34FractionOffsetOccupancyConcretizerINS_8FractionImLm1ELm1EEELln1EEEEELb1EEENS_9Iterators16numeric_iteratorIllPlEEZN8rajaperf9polybench17POLYBENCH_FDTD_2D17runHipVariantImplILm256EEEvNSM_9VariantIDEEUllE0_lNS_4expt15ForallParamPackIJEEES6_SA_TnNSt9enable_ifIXaasr3std10is_base_ofINS5_10DirectBaseET4_EE5valuegtsrT5_10block_sizeLi0EEmE4typeELm256EEEvT1_T0_T2_T3_
; %bb.0:
	s_load_dwordx4 s[0:3], s[4:5], 0x58
	s_mov_b32 s7, 0
	s_lshl_b64 s[6:7], s[6:7], 8
	v_or_b32_e32 v0, s6, v0
	v_mov_b32_e32 v1, s7
	s_waitcnt lgkmcnt(0)
	v_cmp_gt_i64_e32 vcc, s[2:3], v[0:1]
	s_and_saveexec_b64 s[2:3], vcc
	s_cbranch_execz .LBB8_2
; %bb.1:
	s_load_dwordx2 s[2:3], s[4:5], 0x0
	s_load_dwordx4 s[8:11], s[4:5], 0x48
	s_lshl_b64 s[0:1], s[0:1], 3
	v_lshlrev_b64 v[0:1], 3, v[0:1]
	s_waitcnt lgkmcnt(0)
	s_add_u32 s2, s0, s2
	s_addc_u32 s3, s1, s3
	s_lshl_b64 s[0:1], s[10:11], 3
	s_add_u32 s0, s8, s0
	s_addc_u32 s1, s9, s1
	s_load_dwordx2 s[0:1], s[0:1], 0x0
	v_mov_b32_e32 v2, s3
	v_add_co_u32_e32 v0, vcc, s2, v0
	v_addc_co_u32_e32 v1, vcc, v2, v1, vcc
	s_waitcnt lgkmcnt(0)
	v_pk_mov_b32 v[2:3], s[0:1], s[0:1] op_sel:[0,1]
	global_store_dwordx2 v[0:1], v[2:3], off
.LBB8_2:
	s_endpgm
	.section	.rodata,"a",@progbits
	.p2align	6, 0x0
	.amdhsa_kernel _ZN4RAJA6policy3hip4impl18forallp_hip_kernelINS1_8hip_execINS_17iteration_mapping6DirectENS_3hip11IndexGlobalILNS_9named_dimE0ELi256ELi0EEENS7_40AvoidDeviceMaxThreadOccupancyConcretizerINS7_34FractionOffsetOccupancyConcretizerINS_8FractionImLm1ELm1EEELln1EEEEELb1EEENS_9Iterators16numeric_iteratorIllPlEEZN8rajaperf9polybench17POLYBENCH_FDTD_2D17runHipVariantImplILm256EEEvNSM_9VariantIDEEUllE0_lNS_4expt15ForallParamPackIJEEES6_SA_TnNSt9enable_ifIXaasr3std10is_base_ofINS5_10DirectBaseET4_EE5valuegtsrT5_10block_sizeLi0EEmE4typeELm256EEEvT1_T0_T2_T3_
		.amdhsa_group_segment_fixed_size 0
		.amdhsa_private_segment_fixed_size 0
		.amdhsa_kernarg_size 108
		.amdhsa_user_sgpr_count 6
		.amdhsa_user_sgpr_private_segment_buffer 1
		.amdhsa_user_sgpr_dispatch_ptr 0
		.amdhsa_user_sgpr_queue_ptr 0
		.amdhsa_user_sgpr_kernarg_segment_ptr 1
		.amdhsa_user_sgpr_dispatch_id 0
		.amdhsa_user_sgpr_flat_scratch_init 0
		.amdhsa_user_sgpr_kernarg_preload_length 0
		.amdhsa_user_sgpr_kernarg_preload_offset 0
		.amdhsa_user_sgpr_private_segment_size 0
		.amdhsa_uses_dynamic_stack 0
		.amdhsa_system_sgpr_private_segment_wavefront_offset 0
		.amdhsa_system_sgpr_workgroup_id_x 1
		.amdhsa_system_sgpr_workgroup_id_y 0
		.amdhsa_system_sgpr_workgroup_id_z 0
		.amdhsa_system_sgpr_workgroup_info 0
		.amdhsa_system_vgpr_workitem_id 0
		.amdhsa_next_free_vgpr 4
		.amdhsa_next_free_sgpr 12
		.amdhsa_accum_offset 4
		.amdhsa_reserve_vcc 1
		.amdhsa_reserve_flat_scratch 0
		.amdhsa_float_round_mode_32 0
		.amdhsa_float_round_mode_16_64 0
		.amdhsa_float_denorm_mode_32 3
		.amdhsa_float_denorm_mode_16_64 3
		.amdhsa_dx10_clamp 1
		.amdhsa_ieee_mode 1
		.amdhsa_fp16_overflow 0
		.amdhsa_tg_split 0
		.amdhsa_exception_fp_ieee_invalid_op 0
		.amdhsa_exception_fp_denorm_src 0
		.amdhsa_exception_fp_ieee_div_zero 0
		.amdhsa_exception_fp_ieee_overflow 0
		.amdhsa_exception_fp_ieee_underflow 0
		.amdhsa_exception_fp_ieee_inexact 0
		.amdhsa_exception_int_div_zero 0
	.end_amdhsa_kernel
	.section	.text._ZN4RAJA6policy3hip4impl18forallp_hip_kernelINS1_8hip_execINS_17iteration_mapping6DirectENS_3hip11IndexGlobalILNS_9named_dimE0ELi256ELi0EEENS7_40AvoidDeviceMaxThreadOccupancyConcretizerINS7_34FractionOffsetOccupancyConcretizerINS_8FractionImLm1ELm1EEELln1EEEEELb1EEENS_9Iterators16numeric_iteratorIllPlEEZN8rajaperf9polybench17POLYBENCH_FDTD_2D17runHipVariantImplILm256EEEvNSM_9VariantIDEEUllE0_lNS_4expt15ForallParamPackIJEEES6_SA_TnNSt9enable_ifIXaasr3std10is_base_ofINS5_10DirectBaseET4_EE5valuegtsrT5_10block_sizeLi0EEmE4typeELm256EEEvT1_T0_T2_T3_,"axG",@progbits,_ZN4RAJA6policy3hip4impl18forallp_hip_kernelINS1_8hip_execINS_17iteration_mapping6DirectENS_3hip11IndexGlobalILNS_9named_dimE0ELi256ELi0EEENS7_40AvoidDeviceMaxThreadOccupancyConcretizerINS7_34FractionOffsetOccupancyConcretizerINS_8FractionImLm1ELm1EEELln1EEEEELb1EEENS_9Iterators16numeric_iteratorIllPlEEZN8rajaperf9polybench17POLYBENCH_FDTD_2D17runHipVariantImplILm256EEEvNSM_9VariantIDEEUllE0_lNS_4expt15ForallParamPackIJEEES6_SA_TnNSt9enable_ifIXaasr3std10is_base_ofINS5_10DirectBaseET4_EE5valuegtsrT5_10block_sizeLi0EEmE4typeELm256EEEvT1_T0_T2_T3_,comdat
.Lfunc_end8:
	.size	_ZN4RAJA6policy3hip4impl18forallp_hip_kernelINS1_8hip_execINS_17iteration_mapping6DirectENS_3hip11IndexGlobalILNS_9named_dimE0ELi256ELi0EEENS7_40AvoidDeviceMaxThreadOccupancyConcretizerINS7_34FractionOffsetOccupancyConcretizerINS_8FractionImLm1ELm1EEELln1EEEEELb1EEENS_9Iterators16numeric_iteratorIllPlEEZN8rajaperf9polybench17POLYBENCH_FDTD_2D17runHipVariantImplILm256EEEvNSM_9VariantIDEEUllE0_lNS_4expt15ForallParamPackIJEEES6_SA_TnNSt9enable_ifIXaasr3std10is_base_ofINS5_10DirectBaseET4_EE5valuegtsrT5_10block_sizeLi0EEmE4typeELm256EEEvT1_T0_T2_T3_, .Lfunc_end8-_ZN4RAJA6policy3hip4impl18forallp_hip_kernelINS1_8hip_execINS_17iteration_mapping6DirectENS_3hip11IndexGlobalILNS_9named_dimE0ELi256ELi0EEENS7_40AvoidDeviceMaxThreadOccupancyConcretizerINS7_34FractionOffsetOccupancyConcretizerINS_8FractionImLm1ELm1EEELln1EEEEELb1EEENS_9Iterators16numeric_iteratorIllPlEEZN8rajaperf9polybench17POLYBENCH_FDTD_2D17runHipVariantImplILm256EEEvNSM_9VariantIDEEUllE0_lNS_4expt15ForallParamPackIJEEES6_SA_TnNSt9enable_ifIXaasr3std10is_base_ofINS5_10DirectBaseET4_EE5valuegtsrT5_10block_sizeLi0EEmE4typeELm256EEEvT1_T0_T2_T3_
                                        ; -- End function
	.section	.AMDGPU.csdata,"",@progbits
; Kernel info:
; codeLenInByte = 136
; NumSgprs: 16
; NumVgprs: 4
; NumAgprs: 0
; TotalNumVgprs: 4
; ScratchSize: 0
; MemoryBound: 0
; FloatMode: 240
; IeeeMode: 1
; LDSByteSize: 0 bytes/workgroup (compile time only)
; SGPRBlocks: 1
; VGPRBlocks: 0
; NumSGPRsForWavesPerEU: 16
; NumVGPRsForWavesPerEU: 4
; AccumOffset: 4
; Occupancy: 8
; WaveLimiterHint : 1
; COMPUTE_PGM_RSRC2:SCRATCH_EN: 0
; COMPUTE_PGM_RSRC2:USER_SGPR: 6
; COMPUTE_PGM_RSRC2:TRAP_HANDLER: 0
; COMPUTE_PGM_RSRC2:TGID_X_EN: 1
; COMPUTE_PGM_RSRC2:TGID_Y_EN: 0
; COMPUTE_PGM_RSRC2:TGID_Z_EN: 0
; COMPUTE_PGM_RSRC2:TIDIG_COMP_CNT: 0
; COMPUTE_PGM_RSRC3_GFX90A:ACCUM_OFFSET: 0
; COMPUTE_PGM_RSRC3_GFX90A:TG_SPLIT: 0
	.section	.text._ZN4RAJA8internal22HipKernelLauncherFixedILi256ENS0_8LoopDataIN4camp5tupleIJNS_4SpanINS_9Iterators16numeric_iteratorIllPlEElEESA_EEENS4_IJEEENS3_9resources2v13HipEJZN8rajaperf9polybench17POLYBENCH_FDTD_2D17runHipVariantImplILm256EEEvNSG_9VariantIDEEUlllE2_EEENS0_24HipStatementListExecutorISM_NS3_4listIJNS_9statement3ForILl0ENS_6policy3hip11hip_indexerINS_17iteration_mapping6DirectELNS_23kernel_sync_requirementE0EJNS_3hip11IndexGlobalILNS_9named_dimE1ELi8ELi0EEEEEEJNSQ_ILl1ENST_ISV_LSW_0EJNSY_ILSZ_0ELi32ELi0EEEEEEJNSP_6LambdaILl0EJEEEEEEEEEEEENS0_9LoopTypesINSO_IJvvEEES1A_EEEEEEvT0_,"axG",@progbits,_ZN4RAJA8internal22HipKernelLauncherFixedILi256ENS0_8LoopDataIN4camp5tupleIJNS_4SpanINS_9Iterators16numeric_iteratorIllPlEElEESA_EEENS4_IJEEENS3_9resources2v13HipEJZN8rajaperf9polybench17POLYBENCH_FDTD_2D17runHipVariantImplILm256EEEvNSG_9VariantIDEEUlllE2_EEENS0_24HipStatementListExecutorISM_NS3_4listIJNS_9statement3ForILl0ENS_6policy3hip11hip_indexerINS_17iteration_mapping6DirectELNS_23kernel_sync_requirementE0EJNS_3hip11IndexGlobalILNS_9named_dimE1ELi8ELi0EEEEEEJNSQ_ILl1ENST_ISV_LSW_0EJNSY_ILSZ_0ELi32ELi0EEEEEEJNSP_6LambdaILl0EJEEEEEEEEEEEENS0_9LoopTypesINSO_IJvvEEES1A_EEEEEEvT0_,comdat
	.protected	_ZN4RAJA8internal22HipKernelLauncherFixedILi256ENS0_8LoopDataIN4camp5tupleIJNS_4SpanINS_9Iterators16numeric_iteratorIllPlEElEESA_EEENS4_IJEEENS3_9resources2v13HipEJZN8rajaperf9polybench17POLYBENCH_FDTD_2D17runHipVariantImplILm256EEEvNSG_9VariantIDEEUlllE2_EEENS0_24HipStatementListExecutorISM_NS3_4listIJNS_9statement3ForILl0ENS_6policy3hip11hip_indexerINS_17iteration_mapping6DirectELNS_23kernel_sync_requirementE0EJNS_3hip11IndexGlobalILNS_9named_dimE1ELi8ELi0EEEEEEJNSQ_ILl1ENST_ISV_LSW_0EJNSY_ILSZ_0ELi32ELi0EEEEEEJNSP_6LambdaILl0EJEEEEEEEEEEEENS0_9LoopTypesINSO_IJvvEEES1A_EEEEEEvT0_ ; -- Begin function _ZN4RAJA8internal22HipKernelLauncherFixedILi256ENS0_8LoopDataIN4camp5tupleIJNS_4SpanINS_9Iterators16numeric_iteratorIllPlEElEESA_EEENS4_IJEEENS3_9resources2v13HipEJZN8rajaperf9polybench17POLYBENCH_FDTD_2D17runHipVariantImplILm256EEEvNSG_9VariantIDEEUlllE2_EEENS0_24HipStatementListExecutorISM_NS3_4listIJNS_9statement3ForILl0ENS_6policy3hip11hip_indexerINS_17iteration_mapping6DirectELNS_23kernel_sync_requirementE0EJNS_3hip11IndexGlobalILNS_9named_dimE1ELi8ELi0EEEEEEJNSQ_ILl1ENST_ISV_LSW_0EJNSY_ILSZ_0ELi32ELi0EEEEEEJNSP_6LambdaILl0EJEEEEEEEEEEEENS0_9LoopTypesINSO_IJvvEEES1A_EEEEEEvT0_
	.globl	_ZN4RAJA8internal22HipKernelLauncherFixedILi256ENS0_8LoopDataIN4camp5tupleIJNS_4SpanINS_9Iterators16numeric_iteratorIllPlEElEESA_EEENS4_IJEEENS3_9resources2v13HipEJZN8rajaperf9polybench17POLYBENCH_FDTD_2D17runHipVariantImplILm256EEEvNSG_9VariantIDEEUlllE2_EEENS0_24HipStatementListExecutorISM_NS3_4listIJNS_9statement3ForILl0ENS_6policy3hip11hip_indexerINS_17iteration_mapping6DirectELNS_23kernel_sync_requirementE0EJNS_3hip11IndexGlobalILNS_9named_dimE1ELi8ELi0EEEEEEJNSQ_ILl1ENST_ISV_LSW_0EJNSY_ILSZ_0ELi32ELi0EEEEEEJNSP_6LambdaILl0EJEEEEEEEEEEEENS0_9LoopTypesINSO_IJvvEEES1A_EEEEEEvT0_
	.p2align	8
	.type	_ZN4RAJA8internal22HipKernelLauncherFixedILi256ENS0_8LoopDataIN4camp5tupleIJNS_4SpanINS_9Iterators16numeric_iteratorIllPlEElEESA_EEENS4_IJEEENS3_9resources2v13HipEJZN8rajaperf9polybench17POLYBENCH_FDTD_2D17runHipVariantImplILm256EEEvNSG_9VariantIDEEUlllE2_EEENS0_24HipStatementListExecutorISM_NS3_4listIJNS_9statement3ForILl0ENS_6policy3hip11hip_indexerINS_17iteration_mapping6DirectELNS_23kernel_sync_requirementE0EJNS_3hip11IndexGlobalILNS_9named_dimE1ELi8ELi0EEEEEEJNSQ_ILl1ENST_ISV_LSW_0EJNSY_ILSZ_0ELi32ELi0EEEEEEJNSP_6LambdaILl0EJEEEEEEEEEEEENS0_9LoopTypesINSO_IJvvEEES1A_EEEEEEvT0_,@function
_ZN4RAJA8internal22HipKernelLauncherFixedILi256ENS0_8LoopDataIN4camp5tupleIJNS_4SpanINS_9Iterators16numeric_iteratorIllPlEElEESA_EEENS4_IJEEENS3_9resources2v13HipEJZN8rajaperf9polybench17POLYBENCH_FDTD_2D17runHipVariantImplILm256EEEvNSG_9VariantIDEEUlllE2_EEENS0_24HipStatementListExecutorISM_NS3_4listIJNS_9statement3ForILl0ENS_6policy3hip11hip_indexerINS_17iteration_mapping6DirectELNS_23kernel_sync_requirementE0EJNS_3hip11IndexGlobalILNS_9named_dimE1ELi8ELi0EEEEEEJNSQ_ILl1ENST_ISV_LSW_0EJNSY_ILSZ_0ELi32ELi0EEEEEEJNSP_6LambdaILl0EJEEEEEEEEEEEENS0_9LoopTypesINSO_IJvvEEES1A_EEEEEEvT0_: ; @_ZN4RAJA8internal22HipKernelLauncherFixedILi256ENS0_8LoopDataIN4camp5tupleIJNS_4SpanINS_9Iterators16numeric_iteratorIllPlEElEESA_EEENS4_IJEEENS3_9resources2v13HipEJZN8rajaperf9polybench17POLYBENCH_FDTD_2D17runHipVariantImplILm256EEEvNSG_9VariantIDEEUlllE2_EEENS0_24HipStatementListExecutorISM_NS3_4listIJNS_9statement3ForILl0ENS_6policy3hip11hip_indexerINS_17iteration_mapping6DirectELNS_23kernel_sync_requirementE0EJNS_3hip11IndexGlobalILNS_9named_dimE1ELi8ELi0EEEEEEJNSQ_ILl1ENST_ISV_LSW_0EJNSY_ILSZ_0ELi32ELi0EEEEEEJNSP_6LambdaILl0EJEEEEEEEEEEEENS0_9LoopTypesINSO_IJvvEEES1A_EEEEEEvT0_
; %bb.0:
	s_load_dwordx8 s[8:15], s[4:5], 0x0
	s_mov_b32 s0, s7
	s_mov_b32 s1, 0
	v_bfe_u32 v1, v0, 10, 10
	s_mov_b32 s7, s1
	s_waitcnt lgkmcnt(0)
	s_sub_u32 s2, s10, s8
	s_subb_u32 s3, s11, s9
	s_lshl_b64 s[10:11], s[0:1], 3
	v_mov_b32_e32 v3, s11
	v_add_co_u32_e32 v2, vcc, s10, v1
	v_addc_co_u32_e32 v3, vcc, 0, v3, vcc
	v_cmp_gt_i64_e32 vcc, s[2:3], v[2:3]
	s_sub_u32 s2, s14, s12
	s_subb_u32 s3, s15, s13
	v_and_b32_e32 v0, 0x3ff, v0
	s_lshl_b64 s[0:1], s[6:7], 5
	v_mov_b32_e32 v1, s1
	v_add_co_u32_e64 v0, s[0:1], s0, v0
	v_addc_co_u32_e64 v1, s[0:1], 0, v1, s[0:1]
	v_cmp_gt_i64_e64 s[0:1], s[2:3], v[0:1]
	s_and_b64 s[0:1], vcc, s[0:1]
	s_and_saveexec_b64 s[2:3], s[0:1]
	s_cbranch_execz .LBB9_2
; %bb.1:
	s_load_dwordx2 s[0:1], s[4:5], 0x38
	s_load_dwordx2 s[2:3], s[4:5], 0x98
	;; [unrolled: 1-line block ×4, first 2 shown]
	v_mov_b32_e32 v4, s9
	v_add_co_u32_e32 v5, vcc, s8, v2
	v_addc_co_u32_e32 v4, vcc, v4, v3, vcc
	v_mov_b32_e32 v2, s13
	v_add_co_u32_e32 v0, vcc, s12, v0
	v_addc_co_u32_e32 v1, vcc, v2, v1, vcc
	s_waitcnt lgkmcnt(0)
	v_mul_lo_u32 v6, s11, v5
	v_mul_lo_u32 v7, s10, v4
	v_mad_u64_u32 v[2:3], s[4:5], s10, v5, 0
	v_add3_u32 v3, v3, v7, v6
	v_lshlrev_b64 v[2:3], 3, v[2:3]
	v_mov_b32_e32 v6, s1
	v_add_co_u32_e32 v2, vcc, s0, v2
	v_addc_co_u32_e32 v3, vcc, v6, v3, vcc
	v_lshlrev_b64 v[0:1], 3, v[0:1]
	v_mul_lo_u32 v6, s3, v5
	v_mul_lo_u32 v7, s2, v4
	v_mad_u64_u32 v[4:5], s[0:1], s2, v5, 0
	v_add_co_u32_e32 v2, vcc, v2, v0
	v_add3_u32 v5, v5, v7, v6
	v_addc_co_u32_e32 v3, vcc, v3, v1, vcc
	v_lshlrev_b64 v[6:7], 3, v[4:5]
	v_mov_b32_e32 v8, s7
	v_add_co_u32_e32 v6, vcc, s6, v6
	v_addc_co_u32_e32 v7, vcc, v8, v7, vcc
	v_add_co_u32_e32 v6, vcc, v6, v0
	v_addc_co_u32_e32 v7, vcc, v7, v1, vcc
	v_mov_b32_e32 v9, s3
	v_subrev_co_u32_e32 v4, vcc, s2, v4
	v_subb_co_u32_e32 v5, vcc, v5, v9, vcc
	v_lshlrev_b64 v[4:5], 3, v[4:5]
	v_add_co_u32_e32 v4, vcc, s6, v4
	v_addc_co_u32_e32 v5, vcc, v8, v5, vcc
	v_add_co_u32_e32 v0, vcc, v4, v0
	v_addc_co_u32_e32 v1, vcc, v5, v1, vcc
	global_load_dwordx2 v[4:5], v[6:7], off
	global_load_dwordx2 v[8:9], v[0:1], off
	global_load_dwordx2 v[10:11], v[2:3], off
	s_waitcnt vmcnt(1)
	v_add_f64 v[0:1], v[4:5], -v[8:9]
	s_waitcnt vmcnt(0)
	v_fmac_f64_e32 v[10:11], -0.5, v[0:1]
	global_store_dwordx2 v[2:3], v[10:11], off
.LBB9_2:
	s_endpgm
	.section	.rodata,"a",@progbits
	.p2align	6, 0x0
	.amdhsa_kernel _ZN4RAJA8internal22HipKernelLauncherFixedILi256ENS0_8LoopDataIN4camp5tupleIJNS_4SpanINS_9Iterators16numeric_iteratorIllPlEElEESA_EEENS4_IJEEENS3_9resources2v13HipEJZN8rajaperf9polybench17POLYBENCH_FDTD_2D17runHipVariantImplILm256EEEvNSG_9VariantIDEEUlllE2_EEENS0_24HipStatementListExecutorISM_NS3_4listIJNS_9statement3ForILl0ENS_6policy3hip11hip_indexerINS_17iteration_mapping6DirectELNS_23kernel_sync_requirementE0EJNS_3hip11IndexGlobalILNS_9named_dimE1ELi8ELi0EEEEEEJNSQ_ILl1ENST_ISV_LSW_0EJNSY_ILSZ_0ELi32ELi0EEEEEEJNSP_6LambdaILl0EJEEEEEEEEEEEENS0_9LoopTypesINSO_IJvvEEES1A_EEEEEEvT0_
		.amdhsa_group_segment_fixed_size 0
		.amdhsa_private_segment_fixed_size 0
		.amdhsa_kernarg_size 224
		.amdhsa_user_sgpr_count 6
		.amdhsa_user_sgpr_private_segment_buffer 1
		.amdhsa_user_sgpr_dispatch_ptr 0
		.amdhsa_user_sgpr_queue_ptr 0
		.amdhsa_user_sgpr_kernarg_segment_ptr 1
		.amdhsa_user_sgpr_dispatch_id 0
		.amdhsa_user_sgpr_flat_scratch_init 0
		.amdhsa_user_sgpr_kernarg_preload_length 0
		.amdhsa_user_sgpr_kernarg_preload_offset 0
		.amdhsa_user_sgpr_private_segment_size 0
		.amdhsa_uses_dynamic_stack 0
		.amdhsa_system_sgpr_private_segment_wavefront_offset 0
		.amdhsa_system_sgpr_workgroup_id_x 1
		.amdhsa_system_sgpr_workgroup_id_y 1
		.amdhsa_system_sgpr_workgroup_id_z 0
		.amdhsa_system_sgpr_workgroup_info 0
		.amdhsa_system_vgpr_workitem_id 1
		.amdhsa_next_free_vgpr 12
		.amdhsa_next_free_sgpr 16
		.amdhsa_accum_offset 12
		.amdhsa_reserve_vcc 1
		.amdhsa_reserve_flat_scratch 0
		.amdhsa_float_round_mode_32 0
		.amdhsa_float_round_mode_16_64 0
		.amdhsa_float_denorm_mode_32 3
		.amdhsa_float_denorm_mode_16_64 3
		.amdhsa_dx10_clamp 1
		.amdhsa_ieee_mode 1
		.amdhsa_fp16_overflow 0
		.amdhsa_tg_split 0
		.amdhsa_exception_fp_ieee_invalid_op 0
		.amdhsa_exception_fp_denorm_src 0
		.amdhsa_exception_fp_ieee_div_zero 0
		.amdhsa_exception_fp_ieee_overflow 0
		.amdhsa_exception_fp_ieee_underflow 0
		.amdhsa_exception_fp_ieee_inexact 0
		.amdhsa_exception_int_div_zero 0
	.end_amdhsa_kernel
	.section	.text._ZN4RAJA8internal22HipKernelLauncherFixedILi256ENS0_8LoopDataIN4camp5tupleIJNS_4SpanINS_9Iterators16numeric_iteratorIllPlEElEESA_EEENS4_IJEEENS3_9resources2v13HipEJZN8rajaperf9polybench17POLYBENCH_FDTD_2D17runHipVariantImplILm256EEEvNSG_9VariantIDEEUlllE2_EEENS0_24HipStatementListExecutorISM_NS3_4listIJNS_9statement3ForILl0ENS_6policy3hip11hip_indexerINS_17iteration_mapping6DirectELNS_23kernel_sync_requirementE0EJNS_3hip11IndexGlobalILNS_9named_dimE1ELi8ELi0EEEEEEJNSQ_ILl1ENST_ISV_LSW_0EJNSY_ILSZ_0ELi32ELi0EEEEEEJNSP_6LambdaILl0EJEEEEEEEEEEEENS0_9LoopTypesINSO_IJvvEEES1A_EEEEEEvT0_,"axG",@progbits,_ZN4RAJA8internal22HipKernelLauncherFixedILi256ENS0_8LoopDataIN4camp5tupleIJNS_4SpanINS_9Iterators16numeric_iteratorIllPlEElEESA_EEENS4_IJEEENS3_9resources2v13HipEJZN8rajaperf9polybench17POLYBENCH_FDTD_2D17runHipVariantImplILm256EEEvNSG_9VariantIDEEUlllE2_EEENS0_24HipStatementListExecutorISM_NS3_4listIJNS_9statement3ForILl0ENS_6policy3hip11hip_indexerINS_17iteration_mapping6DirectELNS_23kernel_sync_requirementE0EJNS_3hip11IndexGlobalILNS_9named_dimE1ELi8ELi0EEEEEEJNSQ_ILl1ENST_ISV_LSW_0EJNSY_ILSZ_0ELi32ELi0EEEEEEJNSP_6LambdaILl0EJEEEEEEEEEEEENS0_9LoopTypesINSO_IJvvEEES1A_EEEEEEvT0_,comdat
.Lfunc_end9:
	.size	_ZN4RAJA8internal22HipKernelLauncherFixedILi256ENS0_8LoopDataIN4camp5tupleIJNS_4SpanINS_9Iterators16numeric_iteratorIllPlEElEESA_EEENS4_IJEEENS3_9resources2v13HipEJZN8rajaperf9polybench17POLYBENCH_FDTD_2D17runHipVariantImplILm256EEEvNSG_9VariantIDEEUlllE2_EEENS0_24HipStatementListExecutorISM_NS3_4listIJNS_9statement3ForILl0ENS_6policy3hip11hip_indexerINS_17iteration_mapping6DirectELNS_23kernel_sync_requirementE0EJNS_3hip11IndexGlobalILNS_9named_dimE1ELi8ELi0EEEEEEJNSQ_ILl1ENST_ISV_LSW_0EJNSY_ILSZ_0ELi32ELi0EEEEEEJNSP_6LambdaILl0EJEEEEEEEEEEEENS0_9LoopTypesINSO_IJvvEEES1A_EEEEEEvT0_, .Lfunc_end9-_ZN4RAJA8internal22HipKernelLauncherFixedILi256ENS0_8LoopDataIN4camp5tupleIJNS_4SpanINS_9Iterators16numeric_iteratorIllPlEElEESA_EEENS4_IJEEENS3_9resources2v13HipEJZN8rajaperf9polybench17POLYBENCH_FDTD_2D17runHipVariantImplILm256EEEvNSG_9VariantIDEEUlllE2_EEENS0_24HipStatementListExecutorISM_NS3_4listIJNS_9statement3ForILl0ENS_6policy3hip11hip_indexerINS_17iteration_mapping6DirectELNS_23kernel_sync_requirementE0EJNS_3hip11IndexGlobalILNS_9named_dimE1ELi8ELi0EEEEEEJNSQ_ILl1ENST_ISV_LSW_0EJNSY_ILSZ_0ELi32ELi0EEEEEEJNSP_6LambdaILl0EJEEEEEEEEEEEENS0_9LoopTypesINSO_IJvvEEES1A_EEEEEEvT0_
                                        ; -- End function
	.section	.AMDGPU.csdata,"",@progbits
; Kernel info:
; codeLenInByte = 400
; NumSgprs: 20
; NumVgprs: 12
; NumAgprs: 0
; TotalNumVgprs: 12
; ScratchSize: 0
; MemoryBound: 0
; FloatMode: 240
; IeeeMode: 1
; LDSByteSize: 0 bytes/workgroup (compile time only)
; SGPRBlocks: 2
; VGPRBlocks: 1
; NumSGPRsForWavesPerEU: 20
; NumVGPRsForWavesPerEU: 12
; AccumOffset: 12
; Occupancy: 8
; WaveLimiterHint : 0
; COMPUTE_PGM_RSRC2:SCRATCH_EN: 0
; COMPUTE_PGM_RSRC2:USER_SGPR: 6
; COMPUTE_PGM_RSRC2:TRAP_HANDLER: 0
; COMPUTE_PGM_RSRC2:TGID_X_EN: 1
; COMPUTE_PGM_RSRC2:TGID_Y_EN: 1
; COMPUTE_PGM_RSRC2:TGID_Z_EN: 0
; COMPUTE_PGM_RSRC2:TIDIG_COMP_CNT: 1
; COMPUTE_PGM_RSRC3_GFX90A:ACCUM_OFFSET: 2
; COMPUTE_PGM_RSRC3_GFX90A:TG_SPLIT: 0
	.section	.text._ZN4RAJA8internal22HipKernelLauncherFixedILi256ENS0_8LoopDataIN4camp5tupleIJNS_4SpanINS_9Iterators16numeric_iteratorIllPlEElEESA_EEENS4_IJEEENS3_9resources2v13HipEJZN8rajaperf9polybench17POLYBENCH_FDTD_2D17runHipVariantImplILm256EEEvNSG_9VariantIDEEUlllE3_EEENS0_24HipStatementListExecutorISM_NS3_4listIJNS_9statement3ForILl0ENS_6policy3hip11hip_indexerINS_17iteration_mapping6DirectELNS_23kernel_sync_requirementE0EJNS_3hip11IndexGlobalILNS_9named_dimE1ELi8ELi0EEEEEEJNSQ_ILl1ENST_ISV_LSW_0EJNSY_ILSZ_0ELi32ELi0EEEEEEJNSP_6LambdaILl0EJEEEEEEEEEEEENS0_9LoopTypesINSO_IJvvEEES1A_EEEEEEvT0_,"axG",@progbits,_ZN4RAJA8internal22HipKernelLauncherFixedILi256ENS0_8LoopDataIN4camp5tupleIJNS_4SpanINS_9Iterators16numeric_iteratorIllPlEElEESA_EEENS4_IJEEENS3_9resources2v13HipEJZN8rajaperf9polybench17POLYBENCH_FDTD_2D17runHipVariantImplILm256EEEvNSG_9VariantIDEEUlllE3_EEENS0_24HipStatementListExecutorISM_NS3_4listIJNS_9statement3ForILl0ENS_6policy3hip11hip_indexerINS_17iteration_mapping6DirectELNS_23kernel_sync_requirementE0EJNS_3hip11IndexGlobalILNS_9named_dimE1ELi8ELi0EEEEEEJNSQ_ILl1ENST_ISV_LSW_0EJNSY_ILSZ_0ELi32ELi0EEEEEEJNSP_6LambdaILl0EJEEEEEEEEEEEENS0_9LoopTypesINSO_IJvvEEES1A_EEEEEEvT0_,comdat
	.protected	_ZN4RAJA8internal22HipKernelLauncherFixedILi256ENS0_8LoopDataIN4camp5tupleIJNS_4SpanINS_9Iterators16numeric_iteratorIllPlEElEESA_EEENS4_IJEEENS3_9resources2v13HipEJZN8rajaperf9polybench17POLYBENCH_FDTD_2D17runHipVariantImplILm256EEEvNSG_9VariantIDEEUlllE3_EEENS0_24HipStatementListExecutorISM_NS3_4listIJNS_9statement3ForILl0ENS_6policy3hip11hip_indexerINS_17iteration_mapping6DirectELNS_23kernel_sync_requirementE0EJNS_3hip11IndexGlobalILNS_9named_dimE1ELi8ELi0EEEEEEJNSQ_ILl1ENST_ISV_LSW_0EJNSY_ILSZ_0ELi32ELi0EEEEEEJNSP_6LambdaILl0EJEEEEEEEEEEEENS0_9LoopTypesINSO_IJvvEEES1A_EEEEEEvT0_ ; -- Begin function _ZN4RAJA8internal22HipKernelLauncherFixedILi256ENS0_8LoopDataIN4camp5tupleIJNS_4SpanINS_9Iterators16numeric_iteratorIllPlEElEESA_EEENS4_IJEEENS3_9resources2v13HipEJZN8rajaperf9polybench17POLYBENCH_FDTD_2D17runHipVariantImplILm256EEEvNSG_9VariantIDEEUlllE3_EEENS0_24HipStatementListExecutorISM_NS3_4listIJNS_9statement3ForILl0ENS_6policy3hip11hip_indexerINS_17iteration_mapping6DirectELNS_23kernel_sync_requirementE0EJNS_3hip11IndexGlobalILNS_9named_dimE1ELi8ELi0EEEEEEJNSQ_ILl1ENST_ISV_LSW_0EJNSY_ILSZ_0ELi32ELi0EEEEEEJNSP_6LambdaILl0EJEEEEEEEEEEEENS0_9LoopTypesINSO_IJvvEEES1A_EEEEEEvT0_
	.globl	_ZN4RAJA8internal22HipKernelLauncherFixedILi256ENS0_8LoopDataIN4camp5tupleIJNS_4SpanINS_9Iterators16numeric_iteratorIllPlEElEESA_EEENS4_IJEEENS3_9resources2v13HipEJZN8rajaperf9polybench17POLYBENCH_FDTD_2D17runHipVariantImplILm256EEEvNSG_9VariantIDEEUlllE3_EEENS0_24HipStatementListExecutorISM_NS3_4listIJNS_9statement3ForILl0ENS_6policy3hip11hip_indexerINS_17iteration_mapping6DirectELNS_23kernel_sync_requirementE0EJNS_3hip11IndexGlobalILNS_9named_dimE1ELi8ELi0EEEEEEJNSQ_ILl1ENST_ISV_LSW_0EJNSY_ILSZ_0ELi32ELi0EEEEEEJNSP_6LambdaILl0EJEEEEEEEEEEEENS0_9LoopTypesINSO_IJvvEEES1A_EEEEEEvT0_
	.p2align	8
	.type	_ZN4RAJA8internal22HipKernelLauncherFixedILi256ENS0_8LoopDataIN4camp5tupleIJNS_4SpanINS_9Iterators16numeric_iteratorIllPlEElEESA_EEENS4_IJEEENS3_9resources2v13HipEJZN8rajaperf9polybench17POLYBENCH_FDTD_2D17runHipVariantImplILm256EEEvNSG_9VariantIDEEUlllE3_EEENS0_24HipStatementListExecutorISM_NS3_4listIJNS_9statement3ForILl0ENS_6policy3hip11hip_indexerINS_17iteration_mapping6DirectELNS_23kernel_sync_requirementE0EJNS_3hip11IndexGlobalILNS_9named_dimE1ELi8ELi0EEEEEEJNSQ_ILl1ENST_ISV_LSW_0EJNSY_ILSZ_0ELi32ELi0EEEEEEJNSP_6LambdaILl0EJEEEEEEEEEEEENS0_9LoopTypesINSO_IJvvEEES1A_EEEEEEvT0_,@function
_ZN4RAJA8internal22HipKernelLauncherFixedILi256ENS0_8LoopDataIN4camp5tupleIJNS_4SpanINS_9Iterators16numeric_iteratorIllPlEElEESA_EEENS4_IJEEENS3_9resources2v13HipEJZN8rajaperf9polybench17POLYBENCH_FDTD_2D17runHipVariantImplILm256EEEvNSG_9VariantIDEEUlllE3_EEENS0_24HipStatementListExecutorISM_NS3_4listIJNS_9statement3ForILl0ENS_6policy3hip11hip_indexerINS_17iteration_mapping6DirectELNS_23kernel_sync_requirementE0EJNS_3hip11IndexGlobalILNS_9named_dimE1ELi8ELi0EEEEEEJNSQ_ILl1ENST_ISV_LSW_0EJNSY_ILSZ_0ELi32ELi0EEEEEEJNSP_6LambdaILl0EJEEEEEEEEEEEENS0_9LoopTypesINSO_IJvvEEES1A_EEEEEEvT0_: ; @_ZN4RAJA8internal22HipKernelLauncherFixedILi256ENS0_8LoopDataIN4camp5tupleIJNS_4SpanINS_9Iterators16numeric_iteratorIllPlEElEESA_EEENS4_IJEEENS3_9resources2v13HipEJZN8rajaperf9polybench17POLYBENCH_FDTD_2D17runHipVariantImplILm256EEEvNSG_9VariantIDEEUlllE3_EEENS0_24HipStatementListExecutorISM_NS3_4listIJNS_9statement3ForILl0ENS_6policy3hip11hip_indexerINS_17iteration_mapping6DirectELNS_23kernel_sync_requirementE0EJNS_3hip11IndexGlobalILNS_9named_dimE1ELi8ELi0EEEEEEJNSQ_ILl1ENST_ISV_LSW_0EJNSY_ILSZ_0ELi32ELi0EEEEEEJNSP_6LambdaILl0EJEEEEEEEEEEEENS0_9LoopTypesINSO_IJvvEEES1A_EEEEEEvT0_
; %bb.0:
	s_load_dwordx8 s[8:15], s[4:5], 0x0
	s_mov_b32 s0, s7
	s_mov_b32 s1, 0
	v_bfe_u32 v1, v0, 10, 10
	s_mov_b32 s7, s1
	s_waitcnt lgkmcnt(0)
	s_sub_u32 s2, s10, s8
	s_subb_u32 s3, s11, s9
	s_lshl_b64 s[10:11], s[0:1], 3
	v_mov_b32_e32 v3, s11
	v_add_co_u32_e32 v2, vcc, s10, v1
	v_addc_co_u32_e32 v3, vcc, 0, v3, vcc
	v_cmp_gt_i64_e32 vcc, s[2:3], v[2:3]
	s_sub_u32 s2, s14, s12
	s_subb_u32 s3, s15, s13
	v_and_b32_e32 v0, 0x3ff, v0
	s_lshl_b64 s[0:1], s[6:7], 5
	v_mov_b32_e32 v1, s1
	v_add_co_u32_e64 v0, s[0:1], s0, v0
	v_addc_co_u32_e64 v1, s[0:1], 0, v1, s[0:1]
	v_cmp_gt_i64_e64 s[0:1], s[2:3], v[0:1]
	s_and_b64 s[0:1], vcc, s[0:1]
	s_and_saveexec_b64 s[2:3], s[0:1]
	s_cbranch_execz .LBB10_2
; %bb.1:
	s_load_dwordx2 s[0:1], s[4:5], 0x38
	s_load_dwordx2 s[2:3], s[4:5], 0x98
	s_load_dwordx2 s[6:7], s[4:5], 0x80
	s_load_dwordx2 s[10:11], s[4:5], 0x50
	v_mov_b32_e32 v4, s9
	v_add_co_u32_e32 v6, vcc, s8, v2
	v_addc_co_u32_e32 v7, vcc, v4, v3, vcc
	v_mov_b32_e32 v2, s13
	v_add_co_u32_e32 v0, vcc, s12, v0
	v_addc_co_u32_e32 v1, vcc, v2, v1, vcc
	s_waitcnt lgkmcnt(0)
	v_mul_lo_u32 v4, s11, v6
	v_mul_lo_u32 v5, s10, v7
	v_mad_u64_u32 v[2:3], s[4:5], s10, v6, 0
	v_add3_u32 v3, v3, v5, v4
	v_lshlrev_b64 v[2:3], 3, v[2:3]
	v_mov_b32_e32 v4, s1
	v_add_co_u32_e32 v2, vcc, s0, v2
	v_addc_co_u32_e32 v3, vcc, v4, v3, vcc
	v_lshlrev_b64 v[0:1], 3, v[0:1]
	v_add_co_u32_e32 v4, vcc, v2, v0
	v_addc_co_u32_e32 v5, vcc, v3, v1, vcc
	v_mul_lo_u32 v8, s3, v6
	v_mul_lo_u32 v7, s2, v7
	v_mad_u64_u32 v[2:3], s[0:1], s2, v6, 0
	v_add3_u32 v3, v3, v7, v8
	v_lshlrev_b64 v[2:3], 3, v[2:3]
	v_mov_b32_e32 v6, s7
	v_add_co_u32_e32 v2, vcc, s6, v2
	v_addc_co_u32_e32 v3, vcc, v6, v3, vcc
	v_add_co_u32_e32 v6, vcc, v2, v0
	v_addc_co_u32_e32 v7, vcc, v3, v1, vcc
	global_load_dwordx4 v[0:3], v[6:7], off offset:-8
	global_load_dwordx2 v[8:9], v[4:5], off
	s_waitcnt vmcnt(1)
	v_add_f64 v[0:1], v[2:3], -v[0:1]
	s_waitcnt vmcnt(0)
	v_fmac_f64_e32 v[8:9], -0.5, v[0:1]
	global_store_dwordx2 v[4:5], v[8:9], off
.LBB10_2:
	s_endpgm
	.section	.rodata,"a",@progbits
	.p2align	6, 0x0
	.amdhsa_kernel _ZN4RAJA8internal22HipKernelLauncherFixedILi256ENS0_8LoopDataIN4camp5tupleIJNS_4SpanINS_9Iterators16numeric_iteratorIllPlEElEESA_EEENS4_IJEEENS3_9resources2v13HipEJZN8rajaperf9polybench17POLYBENCH_FDTD_2D17runHipVariantImplILm256EEEvNSG_9VariantIDEEUlllE3_EEENS0_24HipStatementListExecutorISM_NS3_4listIJNS_9statement3ForILl0ENS_6policy3hip11hip_indexerINS_17iteration_mapping6DirectELNS_23kernel_sync_requirementE0EJNS_3hip11IndexGlobalILNS_9named_dimE1ELi8ELi0EEEEEEJNSQ_ILl1ENST_ISV_LSW_0EJNSY_ILSZ_0ELi32ELi0EEEEEEJNSP_6LambdaILl0EJEEEEEEEEEEEENS0_9LoopTypesINSO_IJvvEEES1A_EEEEEEvT0_
		.amdhsa_group_segment_fixed_size 0
		.amdhsa_private_segment_fixed_size 0
		.amdhsa_kernarg_size 224
		.amdhsa_user_sgpr_count 6
		.amdhsa_user_sgpr_private_segment_buffer 1
		.amdhsa_user_sgpr_dispatch_ptr 0
		.amdhsa_user_sgpr_queue_ptr 0
		.amdhsa_user_sgpr_kernarg_segment_ptr 1
		.amdhsa_user_sgpr_dispatch_id 0
		.amdhsa_user_sgpr_flat_scratch_init 0
		.amdhsa_user_sgpr_kernarg_preload_length 0
		.amdhsa_user_sgpr_kernarg_preload_offset 0
		.amdhsa_user_sgpr_private_segment_size 0
		.amdhsa_uses_dynamic_stack 0
		.amdhsa_system_sgpr_private_segment_wavefront_offset 0
		.amdhsa_system_sgpr_workgroup_id_x 1
		.amdhsa_system_sgpr_workgroup_id_y 1
		.amdhsa_system_sgpr_workgroup_id_z 0
		.amdhsa_system_sgpr_workgroup_info 0
		.amdhsa_system_vgpr_workitem_id 1
		.amdhsa_next_free_vgpr 10
		.amdhsa_next_free_sgpr 16
		.amdhsa_accum_offset 12
		.amdhsa_reserve_vcc 1
		.amdhsa_reserve_flat_scratch 0
		.amdhsa_float_round_mode_32 0
		.amdhsa_float_round_mode_16_64 0
		.amdhsa_float_denorm_mode_32 3
		.amdhsa_float_denorm_mode_16_64 3
		.amdhsa_dx10_clamp 1
		.amdhsa_ieee_mode 1
		.amdhsa_fp16_overflow 0
		.amdhsa_tg_split 0
		.amdhsa_exception_fp_ieee_invalid_op 0
		.amdhsa_exception_fp_denorm_src 0
		.amdhsa_exception_fp_ieee_div_zero 0
		.amdhsa_exception_fp_ieee_overflow 0
		.amdhsa_exception_fp_ieee_underflow 0
		.amdhsa_exception_fp_ieee_inexact 0
		.amdhsa_exception_int_div_zero 0
	.end_amdhsa_kernel
	.section	.text._ZN4RAJA8internal22HipKernelLauncherFixedILi256ENS0_8LoopDataIN4camp5tupleIJNS_4SpanINS_9Iterators16numeric_iteratorIllPlEElEESA_EEENS4_IJEEENS3_9resources2v13HipEJZN8rajaperf9polybench17POLYBENCH_FDTD_2D17runHipVariantImplILm256EEEvNSG_9VariantIDEEUlllE3_EEENS0_24HipStatementListExecutorISM_NS3_4listIJNS_9statement3ForILl0ENS_6policy3hip11hip_indexerINS_17iteration_mapping6DirectELNS_23kernel_sync_requirementE0EJNS_3hip11IndexGlobalILNS_9named_dimE1ELi8ELi0EEEEEEJNSQ_ILl1ENST_ISV_LSW_0EJNSY_ILSZ_0ELi32ELi0EEEEEEJNSP_6LambdaILl0EJEEEEEEEEEEEENS0_9LoopTypesINSO_IJvvEEES1A_EEEEEEvT0_,"axG",@progbits,_ZN4RAJA8internal22HipKernelLauncherFixedILi256ENS0_8LoopDataIN4camp5tupleIJNS_4SpanINS_9Iterators16numeric_iteratorIllPlEElEESA_EEENS4_IJEEENS3_9resources2v13HipEJZN8rajaperf9polybench17POLYBENCH_FDTD_2D17runHipVariantImplILm256EEEvNSG_9VariantIDEEUlllE3_EEENS0_24HipStatementListExecutorISM_NS3_4listIJNS_9statement3ForILl0ENS_6policy3hip11hip_indexerINS_17iteration_mapping6DirectELNS_23kernel_sync_requirementE0EJNS_3hip11IndexGlobalILNS_9named_dimE1ELi8ELi0EEEEEEJNSQ_ILl1ENST_ISV_LSW_0EJNSY_ILSZ_0ELi32ELi0EEEEEEJNSP_6LambdaILl0EJEEEEEEEEEEEENS0_9LoopTypesINSO_IJvvEEES1A_EEEEEEvT0_,comdat
.Lfunc_end10:
	.size	_ZN4RAJA8internal22HipKernelLauncherFixedILi256ENS0_8LoopDataIN4camp5tupleIJNS_4SpanINS_9Iterators16numeric_iteratorIllPlEElEESA_EEENS4_IJEEENS3_9resources2v13HipEJZN8rajaperf9polybench17POLYBENCH_FDTD_2D17runHipVariantImplILm256EEEvNSG_9VariantIDEEUlllE3_EEENS0_24HipStatementListExecutorISM_NS3_4listIJNS_9statement3ForILl0ENS_6policy3hip11hip_indexerINS_17iteration_mapping6DirectELNS_23kernel_sync_requirementE0EJNS_3hip11IndexGlobalILNS_9named_dimE1ELi8ELi0EEEEEEJNSQ_ILl1ENST_ISV_LSW_0EJNSY_ILSZ_0ELi32ELi0EEEEEEJNSP_6LambdaILl0EJEEEEEEEEEEEENS0_9LoopTypesINSO_IJvvEEES1A_EEEEEEvT0_, .Lfunc_end10-_ZN4RAJA8internal22HipKernelLauncherFixedILi256ENS0_8LoopDataIN4camp5tupleIJNS_4SpanINS_9Iterators16numeric_iteratorIllPlEElEESA_EEENS4_IJEEENS3_9resources2v13HipEJZN8rajaperf9polybench17POLYBENCH_FDTD_2D17runHipVariantImplILm256EEEvNSG_9VariantIDEEUlllE3_EEENS0_24HipStatementListExecutorISM_NS3_4listIJNS_9statement3ForILl0ENS_6policy3hip11hip_indexerINS_17iteration_mapping6DirectELNS_23kernel_sync_requirementE0EJNS_3hip11IndexGlobalILNS_9named_dimE1ELi8ELi0EEEEEEJNSQ_ILl1ENST_ISV_LSW_0EJNSY_ILSZ_0ELi32ELi0EEEEEEJNSP_6LambdaILl0EJEEEEEEEEEEEENS0_9LoopTypesINSO_IJvvEEES1A_EEEEEEvT0_
                                        ; -- End function
	.section	.AMDGPU.csdata,"",@progbits
; Kernel info:
; codeLenInByte = 356
; NumSgprs: 20
; NumVgprs: 10
; NumAgprs: 0
; TotalNumVgprs: 10
; ScratchSize: 0
; MemoryBound: 0
; FloatMode: 240
; IeeeMode: 1
; LDSByteSize: 0 bytes/workgroup (compile time only)
; SGPRBlocks: 2
; VGPRBlocks: 1
; NumSGPRsForWavesPerEU: 20
; NumVGPRsForWavesPerEU: 10
; AccumOffset: 12
; Occupancy: 8
; WaveLimiterHint : 0
; COMPUTE_PGM_RSRC2:SCRATCH_EN: 0
; COMPUTE_PGM_RSRC2:USER_SGPR: 6
; COMPUTE_PGM_RSRC2:TRAP_HANDLER: 0
; COMPUTE_PGM_RSRC2:TGID_X_EN: 1
; COMPUTE_PGM_RSRC2:TGID_Y_EN: 1
; COMPUTE_PGM_RSRC2:TGID_Z_EN: 0
; COMPUTE_PGM_RSRC2:TIDIG_COMP_CNT: 1
; COMPUTE_PGM_RSRC3_GFX90A:ACCUM_OFFSET: 2
; COMPUTE_PGM_RSRC3_GFX90A:TG_SPLIT: 0
	.section	.text._ZN4RAJA8internal22HipKernelLauncherFixedILi256ENS0_8LoopDataIN4camp5tupleIJNS_4SpanINS_9Iterators16numeric_iteratorIllPlEElEESA_EEENS4_IJEEENS3_9resources2v13HipEJZN8rajaperf9polybench17POLYBENCH_FDTD_2D17runHipVariantImplILm256EEEvNSG_9VariantIDEEUlllE4_EEENS0_24HipStatementListExecutorISM_NS3_4listIJNS_9statement3ForILl0ENS_6policy3hip11hip_indexerINS_17iteration_mapping6DirectELNS_23kernel_sync_requirementE0EJNS_3hip11IndexGlobalILNS_9named_dimE1ELi8ELi0EEEEEEJNSQ_ILl1ENST_ISV_LSW_0EJNSY_ILSZ_0ELi32ELi0EEEEEEJNSP_6LambdaILl0EJEEEEEEEEEEEENS0_9LoopTypesINSO_IJvvEEES1A_EEEEEEvT0_,"axG",@progbits,_ZN4RAJA8internal22HipKernelLauncherFixedILi256ENS0_8LoopDataIN4camp5tupleIJNS_4SpanINS_9Iterators16numeric_iteratorIllPlEElEESA_EEENS4_IJEEENS3_9resources2v13HipEJZN8rajaperf9polybench17POLYBENCH_FDTD_2D17runHipVariantImplILm256EEEvNSG_9VariantIDEEUlllE4_EEENS0_24HipStatementListExecutorISM_NS3_4listIJNS_9statement3ForILl0ENS_6policy3hip11hip_indexerINS_17iteration_mapping6DirectELNS_23kernel_sync_requirementE0EJNS_3hip11IndexGlobalILNS_9named_dimE1ELi8ELi0EEEEEEJNSQ_ILl1ENST_ISV_LSW_0EJNSY_ILSZ_0ELi32ELi0EEEEEEJNSP_6LambdaILl0EJEEEEEEEEEEEENS0_9LoopTypesINSO_IJvvEEES1A_EEEEEEvT0_,comdat
	.protected	_ZN4RAJA8internal22HipKernelLauncherFixedILi256ENS0_8LoopDataIN4camp5tupleIJNS_4SpanINS_9Iterators16numeric_iteratorIllPlEElEESA_EEENS4_IJEEENS3_9resources2v13HipEJZN8rajaperf9polybench17POLYBENCH_FDTD_2D17runHipVariantImplILm256EEEvNSG_9VariantIDEEUlllE4_EEENS0_24HipStatementListExecutorISM_NS3_4listIJNS_9statement3ForILl0ENS_6policy3hip11hip_indexerINS_17iteration_mapping6DirectELNS_23kernel_sync_requirementE0EJNS_3hip11IndexGlobalILNS_9named_dimE1ELi8ELi0EEEEEEJNSQ_ILl1ENST_ISV_LSW_0EJNSY_ILSZ_0ELi32ELi0EEEEEEJNSP_6LambdaILl0EJEEEEEEEEEEEENS0_9LoopTypesINSO_IJvvEEES1A_EEEEEEvT0_ ; -- Begin function _ZN4RAJA8internal22HipKernelLauncherFixedILi256ENS0_8LoopDataIN4camp5tupleIJNS_4SpanINS_9Iterators16numeric_iteratorIllPlEElEESA_EEENS4_IJEEENS3_9resources2v13HipEJZN8rajaperf9polybench17POLYBENCH_FDTD_2D17runHipVariantImplILm256EEEvNSG_9VariantIDEEUlllE4_EEENS0_24HipStatementListExecutorISM_NS3_4listIJNS_9statement3ForILl0ENS_6policy3hip11hip_indexerINS_17iteration_mapping6DirectELNS_23kernel_sync_requirementE0EJNS_3hip11IndexGlobalILNS_9named_dimE1ELi8ELi0EEEEEEJNSQ_ILl1ENST_ISV_LSW_0EJNSY_ILSZ_0ELi32ELi0EEEEEEJNSP_6LambdaILl0EJEEEEEEEEEEEENS0_9LoopTypesINSO_IJvvEEES1A_EEEEEEvT0_
	.globl	_ZN4RAJA8internal22HipKernelLauncherFixedILi256ENS0_8LoopDataIN4camp5tupleIJNS_4SpanINS_9Iterators16numeric_iteratorIllPlEElEESA_EEENS4_IJEEENS3_9resources2v13HipEJZN8rajaperf9polybench17POLYBENCH_FDTD_2D17runHipVariantImplILm256EEEvNSG_9VariantIDEEUlllE4_EEENS0_24HipStatementListExecutorISM_NS3_4listIJNS_9statement3ForILl0ENS_6policy3hip11hip_indexerINS_17iteration_mapping6DirectELNS_23kernel_sync_requirementE0EJNS_3hip11IndexGlobalILNS_9named_dimE1ELi8ELi0EEEEEEJNSQ_ILl1ENST_ISV_LSW_0EJNSY_ILSZ_0ELi32ELi0EEEEEEJNSP_6LambdaILl0EJEEEEEEEEEEEENS0_9LoopTypesINSO_IJvvEEES1A_EEEEEEvT0_
	.p2align	8
	.type	_ZN4RAJA8internal22HipKernelLauncherFixedILi256ENS0_8LoopDataIN4camp5tupleIJNS_4SpanINS_9Iterators16numeric_iteratorIllPlEElEESA_EEENS4_IJEEENS3_9resources2v13HipEJZN8rajaperf9polybench17POLYBENCH_FDTD_2D17runHipVariantImplILm256EEEvNSG_9VariantIDEEUlllE4_EEENS0_24HipStatementListExecutorISM_NS3_4listIJNS_9statement3ForILl0ENS_6policy3hip11hip_indexerINS_17iteration_mapping6DirectELNS_23kernel_sync_requirementE0EJNS_3hip11IndexGlobalILNS_9named_dimE1ELi8ELi0EEEEEEJNSQ_ILl1ENST_ISV_LSW_0EJNSY_ILSZ_0ELi32ELi0EEEEEEJNSP_6LambdaILl0EJEEEEEEEEEEEENS0_9LoopTypesINSO_IJvvEEES1A_EEEEEEvT0_,@function
_ZN4RAJA8internal22HipKernelLauncherFixedILi256ENS0_8LoopDataIN4camp5tupleIJNS_4SpanINS_9Iterators16numeric_iteratorIllPlEElEESA_EEENS4_IJEEENS3_9resources2v13HipEJZN8rajaperf9polybench17POLYBENCH_FDTD_2D17runHipVariantImplILm256EEEvNSG_9VariantIDEEUlllE4_EEENS0_24HipStatementListExecutorISM_NS3_4listIJNS_9statement3ForILl0ENS_6policy3hip11hip_indexerINS_17iteration_mapping6DirectELNS_23kernel_sync_requirementE0EJNS_3hip11IndexGlobalILNS_9named_dimE1ELi8ELi0EEEEEEJNSQ_ILl1ENST_ISV_LSW_0EJNSY_ILSZ_0ELi32ELi0EEEEEEJNSP_6LambdaILl0EJEEEEEEEEEEEENS0_9LoopTypesINSO_IJvvEEES1A_EEEEEEvT0_: ; @_ZN4RAJA8internal22HipKernelLauncherFixedILi256ENS0_8LoopDataIN4camp5tupleIJNS_4SpanINS_9Iterators16numeric_iteratorIllPlEElEESA_EEENS4_IJEEENS3_9resources2v13HipEJZN8rajaperf9polybench17POLYBENCH_FDTD_2D17runHipVariantImplILm256EEEvNSG_9VariantIDEEUlllE4_EEENS0_24HipStatementListExecutorISM_NS3_4listIJNS_9statement3ForILl0ENS_6policy3hip11hip_indexerINS_17iteration_mapping6DirectELNS_23kernel_sync_requirementE0EJNS_3hip11IndexGlobalILNS_9named_dimE1ELi8ELi0EEEEEEJNSQ_ILl1ENST_ISV_LSW_0EJNSY_ILSZ_0ELi32ELi0EEEEEEJNSP_6LambdaILl0EJEEEEEEEEEEEENS0_9LoopTypesINSO_IJvvEEES1A_EEEEEEvT0_
; %bb.0:
	s_load_dwordx8 s[8:15], s[4:5], 0x0
	s_mov_b32 s0, s7
	s_mov_b32 s1, 0
	v_bfe_u32 v1, v0, 10, 10
	s_mov_b32 s7, s1
	s_waitcnt lgkmcnt(0)
	s_sub_u32 s2, s10, s8
	s_subb_u32 s3, s11, s9
	s_lshl_b64 s[10:11], s[0:1], 3
	v_mov_b32_e32 v3, s11
	v_add_co_u32_e32 v2, vcc, s10, v1
	v_addc_co_u32_e32 v3, vcc, 0, v3, vcc
	v_cmp_gt_i64_e32 vcc, s[2:3], v[2:3]
	s_sub_u32 s2, s14, s12
	s_subb_u32 s3, s15, s13
	v_and_b32_e32 v0, 0x3ff, v0
	s_lshl_b64 s[0:1], s[6:7], 5
	v_mov_b32_e32 v1, s1
	v_add_co_u32_e64 v0, s[0:1], s0, v0
	v_addc_co_u32_e64 v1, s[0:1], 0, v1, s[0:1]
	v_cmp_gt_i64_e64 s[0:1], s[2:3], v[0:1]
	s_and_b64 s[0:1], vcc, s[0:1]
	s_and_saveexec_b64 s[2:3], s[0:1]
	s_cbranch_execz .LBB11_2
; %bb.1:
	s_load_dwordx2 s[0:1], s[4:5], 0xe0
	s_load_dwordx2 s[2:3], s[4:5], 0xc8
	s_load_dwordx2 s[6:7], s[4:5], 0x38
	s_load_dwordx2 s[10:11], s[4:5], 0x98
	s_load_dwordx2 s[14:15], s[4:5], 0x80
	s_load_dwordx2 s[16:17], s[4:5], 0x50
	v_mov_b32_e32 v4, s9
	v_add_co_u32_e32 v8, vcc, s8, v2
	v_addc_co_u32_e32 v9, vcc, v4, v3, vcc
	v_mov_b32_e32 v2, s13
	v_add_co_u32_e32 v0, vcc, s12, v0
	v_addc_co_u32_e32 v1, vcc, v2, v1, vcc
	s_waitcnt lgkmcnt(0)
	v_mul_lo_u32 v4, s17, v8
	v_mul_lo_u32 v5, s16, v9
	v_mad_u64_u32 v[2:3], s[4:5], s16, v8, 0
	v_add3_u32 v3, v3, v5, v4
	v_lshlrev_b64 v[2:3], 3, v[2:3]
	v_mov_b32_e32 v4, s7
	v_add_co_u32_e32 v14, vcc, s6, v2
	v_addc_co_u32_e32 v15, vcc, v4, v3, vcc
	v_lshlrev_b64 v[4:5], 3, v[0:1]
	v_mul_lo_u32 v2, s11, v8
	v_mul_lo_u32 v3, s10, v9
	v_mad_u64_u32 v[0:1], s[4:5], s10, v8, 0
	v_add3_u32 v1, v1, v3, v2
	v_lshlrev_b64 v[0:1], 3, v[0:1]
	v_mov_b32_e32 v2, s15
	v_add_co_u32_e32 v0, vcc, s14, v0
	v_pk_mov_b32 v[6:7], s[0:1], s[0:1] op_sel:[0,1]
	v_addc_co_u32_e32 v1, vcc, v2, v1, vcc
	v_mad_u64_u32 v[6:7], s[4:5], s0, v8, v[6:7]
	v_mul_lo_u32 v10, s0, v9
	v_mul_lo_u32 v11, s1, v8
	v_add_co_u32_e32 v0, vcc, v0, v4
	v_add3_u32 v7, v11, v7, v10
	v_addc_co_u32_e32 v1, vcc, v1, v5, vcc
	v_lshlrev_b64 v[6:7], 3, v[6:7]
	v_mov_b32_e32 v12, s3
	v_add_co_u32_e32 v6, vcc, s2, v6
	v_addc_co_u32_e32 v7, vcc, v12, v7, vcc
	v_mad_u64_u32 v[8:9], s[0:1], s0, v8, 0
	v_add_co_u32_e32 v6, vcc, v6, v4
	v_add3_u32 v9, v9, v10, v11
	v_addc_co_u32_e32 v7, vcc, v7, v5, vcc
	v_lshlrev_b64 v[8:9], 3, v[8:9]
	v_add_co_u32_e32 v8, vcc, s2, v8
	v_addc_co_u32_e32 v9, vcc, v12, v9, vcc
	v_add_co_u32_e32 v8, vcc, v8, v4
	global_load_dwordx4 v[0:3], v[0:1], off
	v_addc_co_u32_e32 v9, vcc, v9, v5, vcc
	v_add_co_u32_e32 v4, vcc, v14, v4
	global_load_dwordx2 v[10:11], v[6:7], off
	global_load_dwordx2 v[12:13], v[8:9], off
	v_addc_co_u32_e32 v5, vcc, v15, v5, vcc
	global_load_dwordx2 v[6:7], v[4:5], off
	s_mov_b32 s0, 0x66666666
	s_mov_b32 s1, 0xbfe66666
	s_waitcnt vmcnt(3)
	v_add_f64 v[0:1], v[2:3], -v[0:1]
	s_waitcnt vmcnt(2)
	v_add_f64 v[0:1], v[0:1], v[10:11]
	s_waitcnt vmcnt(1)
	v_add_f64 v[0:1], v[0:1], -v[12:13]
	s_waitcnt vmcnt(0)
	v_fmac_f64_e32 v[6:7], s[0:1], v[0:1]
	global_store_dwordx2 v[4:5], v[6:7], off
.LBB11_2:
	s_endpgm
	.section	.rodata,"a",@progbits
	.p2align	6, 0x0
	.amdhsa_kernel _ZN4RAJA8internal22HipKernelLauncherFixedILi256ENS0_8LoopDataIN4camp5tupleIJNS_4SpanINS_9Iterators16numeric_iteratorIllPlEElEESA_EEENS4_IJEEENS3_9resources2v13HipEJZN8rajaperf9polybench17POLYBENCH_FDTD_2D17runHipVariantImplILm256EEEvNSG_9VariantIDEEUlllE4_EEENS0_24HipStatementListExecutorISM_NS3_4listIJNS_9statement3ForILl0ENS_6policy3hip11hip_indexerINS_17iteration_mapping6DirectELNS_23kernel_sync_requirementE0EJNS_3hip11IndexGlobalILNS_9named_dimE1ELi8ELi0EEEEEEJNSQ_ILl1ENST_ISV_LSW_0EJNSY_ILSZ_0ELi32ELi0EEEEEEJNSP_6LambdaILl0EJEEEEEEEEEEEENS0_9LoopTypesINSO_IJvvEEES1A_EEEEEEvT0_
		.amdhsa_group_segment_fixed_size 0
		.amdhsa_private_segment_fixed_size 0
		.amdhsa_kernarg_size 296
		.amdhsa_user_sgpr_count 6
		.amdhsa_user_sgpr_private_segment_buffer 1
		.amdhsa_user_sgpr_dispatch_ptr 0
		.amdhsa_user_sgpr_queue_ptr 0
		.amdhsa_user_sgpr_kernarg_segment_ptr 1
		.amdhsa_user_sgpr_dispatch_id 0
		.amdhsa_user_sgpr_flat_scratch_init 0
		.amdhsa_user_sgpr_kernarg_preload_length 0
		.amdhsa_user_sgpr_kernarg_preload_offset 0
		.amdhsa_user_sgpr_private_segment_size 0
		.amdhsa_uses_dynamic_stack 0
		.amdhsa_system_sgpr_private_segment_wavefront_offset 0
		.amdhsa_system_sgpr_workgroup_id_x 1
		.amdhsa_system_sgpr_workgroup_id_y 1
		.amdhsa_system_sgpr_workgroup_id_z 0
		.amdhsa_system_sgpr_workgroup_info 0
		.amdhsa_system_vgpr_workitem_id 1
		.amdhsa_next_free_vgpr 16
		.amdhsa_next_free_sgpr 18
		.amdhsa_accum_offset 16
		.amdhsa_reserve_vcc 1
		.amdhsa_reserve_flat_scratch 0
		.amdhsa_float_round_mode_32 0
		.amdhsa_float_round_mode_16_64 0
		.amdhsa_float_denorm_mode_32 3
		.amdhsa_float_denorm_mode_16_64 3
		.amdhsa_dx10_clamp 1
		.amdhsa_ieee_mode 1
		.amdhsa_fp16_overflow 0
		.amdhsa_tg_split 0
		.amdhsa_exception_fp_ieee_invalid_op 0
		.amdhsa_exception_fp_denorm_src 0
		.amdhsa_exception_fp_ieee_div_zero 0
		.amdhsa_exception_fp_ieee_overflow 0
		.amdhsa_exception_fp_ieee_underflow 0
		.amdhsa_exception_fp_ieee_inexact 0
		.amdhsa_exception_int_div_zero 0
	.end_amdhsa_kernel
	.section	.text._ZN4RAJA8internal22HipKernelLauncherFixedILi256ENS0_8LoopDataIN4camp5tupleIJNS_4SpanINS_9Iterators16numeric_iteratorIllPlEElEESA_EEENS4_IJEEENS3_9resources2v13HipEJZN8rajaperf9polybench17POLYBENCH_FDTD_2D17runHipVariantImplILm256EEEvNSG_9VariantIDEEUlllE4_EEENS0_24HipStatementListExecutorISM_NS3_4listIJNS_9statement3ForILl0ENS_6policy3hip11hip_indexerINS_17iteration_mapping6DirectELNS_23kernel_sync_requirementE0EJNS_3hip11IndexGlobalILNS_9named_dimE1ELi8ELi0EEEEEEJNSQ_ILl1ENST_ISV_LSW_0EJNSY_ILSZ_0ELi32ELi0EEEEEEJNSP_6LambdaILl0EJEEEEEEEEEEEENS0_9LoopTypesINSO_IJvvEEES1A_EEEEEEvT0_,"axG",@progbits,_ZN4RAJA8internal22HipKernelLauncherFixedILi256ENS0_8LoopDataIN4camp5tupleIJNS_4SpanINS_9Iterators16numeric_iteratorIllPlEElEESA_EEENS4_IJEEENS3_9resources2v13HipEJZN8rajaperf9polybench17POLYBENCH_FDTD_2D17runHipVariantImplILm256EEEvNSG_9VariantIDEEUlllE4_EEENS0_24HipStatementListExecutorISM_NS3_4listIJNS_9statement3ForILl0ENS_6policy3hip11hip_indexerINS_17iteration_mapping6DirectELNS_23kernel_sync_requirementE0EJNS_3hip11IndexGlobalILNS_9named_dimE1ELi8ELi0EEEEEEJNSQ_ILl1ENST_ISV_LSW_0EJNSY_ILSZ_0ELi32ELi0EEEEEEJNSP_6LambdaILl0EJEEEEEEEEEEEENS0_9LoopTypesINSO_IJvvEEES1A_EEEEEEvT0_,comdat
.Lfunc_end11:
	.size	_ZN4RAJA8internal22HipKernelLauncherFixedILi256ENS0_8LoopDataIN4camp5tupleIJNS_4SpanINS_9Iterators16numeric_iteratorIllPlEElEESA_EEENS4_IJEEENS3_9resources2v13HipEJZN8rajaperf9polybench17POLYBENCH_FDTD_2D17runHipVariantImplILm256EEEvNSG_9VariantIDEEUlllE4_EEENS0_24HipStatementListExecutorISM_NS3_4listIJNS_9statement3ForILl0ENS_6policy3hip11hip_indexerINS_17iteration_mapping6DirectELNS_23kernel_sync_requirementE0EJNS_3hip11IndexGlobalILNS_9named_dimE1ELi8ELi0EEEEEEJNSQ_ILl1ENST_ISV_LSW_0EJNSY_ILSZ_0ELi32ELi0EEEEEEJNSP_6LambdaILl0EJEEEEEEEEEEEENS0_9LoopTypesINSO_IJvvEEES1A_EEEEEEvT0_, .Lfunc_end11-_ZN4RAJA8internal22HipKernelLauncherFixedILi256ENS0_8LoopDataIN4camp5tupleIJNS_4SpanINS_9Iterators16numeric_iteratorIllPlEElEESA_EEENS4_IJEEENS3_9resources2v13HipEJZN8rajaperf9polybench17POLYBENCH_FDTD_2D17runHipVariantImplILm256EEEvNSG_9VariantIDEEUlllE4_EEENS0_24HipStatementListExecutorISM_NS3_4listIJNS_9statement3ForILl0ENS_6policy3hip11hip_indexerINS_17iteration_mapping6DirectELNS_23kernel_sync_requirementE0EJNS_3hip11IndexGlobalILNS_9named_dimE1ELi8ELi0EEEEEEJNSQ_ILl1ENST_ISV_LSW_0EJNSY_ILSZ_0ELi32ELi0EEEEEEJNSP_6LambdaILl0EJEEEEEEEEEEEENS0_9LoopTypesINSO_IJvvEEES1A_EEEEEEvT0_
                                        ; -- End function
	.section	.AMDGPU.csdata,"",@progbits
; Kernel info:
; codeLenInByte = 536
; NumSgprs: 22
; NumVgprs: 16
; NumAgprs: 0
; TotalNumVgprs: 16
; ScratchSize: 0
; MemoryBound: 0
; FloatMode: 240
; IeeeMode: 1
; LDSByteSize: 0 bytes/workgroup (compile time only)
; SGPRBlocks: 2
; VGPRBlocks: 1
; NumSGPRsForWavesPerEU: 22
; NumVGPRsForWavesPerEU: 16
; AccumOffset: 16
; Occupancy: 8
; WaveLimiterHint : 0
; COMPUTE_PGM_RSRC2:SCRATCH_EN: 0
; COMPUTE_PGM_RSRC2:USER_SGPR: 6
; COMPUTE_PGM_RSRC2:TRAP_HANDLER: 0
; COMPUTE_PGM_RSRC2:TGID_X_EN: 1
; COMPUTE_PGM_RSRC2:TGID_Y_EN: 1
; COMPUTE_PGM_RSRC2:TGID_Z_EN: 0
; COMPUTE_PGM_RSRC2:TIDIG_COMP_CNT: 1
; COMPUTE_PGM_RSRC3_GFX90A:ACCUM_OFFSET: 3
; COMPUTE_PGM_RSRC3_GFX90A:TG_SPLIT: 0
	.text
	.p2alignl 6, 3212836864
	.fill 256, 4, 3212836864
	.type	__hip_cuid_7ffb7685d2f848c2,@object ; @__hip_cuid_7ffb7685d2f848c2
	.section	.bss,"aw",@nobits
	.globl	__hip_cuid_7ffb7685d2f848c2
__hip_cuid_7ffb7685d2f848c2:
	.byte	0                               ; 0x0
	.size	__hip_cuid_7ffb7685d2f848c2, 1

	.ident	"AMD clang version 19.0.0git (https://github.com/RadeonOpenCompute/llvm-project roc-6.4.0 25133 c7fe45cf4b819c5991fe208aaa96edf142730f1d)"
	.section	".note.GNU-stack","",@progbits
	.addrsig
	.addrsig_sym __hip_cuid_7ffb7685d2f848c2
	.amdgpu_metadata
---
amdhsa.kernels:
  - .agpr_count:     0
    .args:
      - .address_space:  global
        .offset:         0
        .size:           8
        .value_kind:     global_buffer
      - .address_space:  global
        .offset:         8
        .size:           8
        .value_kind:     global_buffer
      - .offset:         16
        .size:           8
        .value_kind:     by_value
      - .offset:         24
        .size:           8
        .value_kind:     by_value
    .group_segment_fixed_size: 0
    .kernarg_segment_align: 8
    .kernarg_segment_size: 32
    .language:       OpenCL C
    .language_version:
      - 2
      - 0
    .max_flat_workgroup_size: 256
    .name:           _ZN8rajaperf9polybench13poly_fdtd2d_1ILm256EEEvPdS2_ll
    .private_segment_fixed_size: 0
    .sgpr_count:     20
    .sgpr_spill_count: 0
    .symbol:         _ZN8rajaperf9polybench13poly_fdtd2d_1ILm256EEEvPdS2_ll.kd
    .uniform_work_group_size: 1
    .uses_dynamic_stack: false
    .vgpr_count:     4
    .vgpr_spill_count: 0
    .wavefront_size: 64
  - .agpr_count:     0
    .args:
      - .address_space:  global
        .offset:         0
        .size:           8
        .value_kind:     global_buffer
      - .address_space:  global
        .offset:         8
        .size:           8
        .value_kind:     global_buffer
      - .offset:         16
        .size:           8
        .value_kind:     by_value
      - .offset:         24
        .size:           8
        .value_kind:     by_value
    .group_segment_fixed_size: 0
    .kernarg_segment_align: 8
    .kernarg_segment_size: 32
    .language:       OpenCL C
    .language_version:
      - 2
      - 0
    .max_flat_workgroup_size: 256
    .name:           _ZN8rajaperf9polybench13poly_fdtd2d_2ILm32ELm8EEEvPdS2_ll
    .private_segment_fixed_size: 0
    .sgpr_count:     20
    .sgpr_spill_count: 0
    .symbol:         _ZN8rajaperf9polybench13poly_fdtd2d_2ILm32ELm8EEEvPdS2_ll.kd
    .uniform_work_group_size: 1
    .uses_dynamic_stack: false
    .vgpr_count:     12
    .vgpr_spill_count: 0
    .wavefront_size: 64
  - .agpr_count:     0
    .args:
      - .address_space:  global
        .offset:         0
        .size:           8
        .value_kind:     global_buffer
      - .address_space:  global
        .offset:         8
        .size:           8
        .value_kind:     global_buffer
      - .offset:         16
        .size:           8
        .value_kind:     by_value
      - .offset:         24
        .size:           8
        .value_kind:     by_value
    .group_segment_fixed_size: 0
    .kernarg_segment_align: 8
    .kernarg_segment_size: 32
    .language:       OpenCL C
    .language_version:
      - 2
      - 0
    .max_flat_workgroup_size: 256
    .name:           _ZN8rajaperf9polybench13poly_fdtd2d_3ILm32ELm8EEEvPdS2_ll
    .private_segment_fixed_size: 0
    .sgpr_count:     20
    .sgpr_spill_count: 0
    .symbol:         _ZN8rajaperf9polybench13poly_fdtd2d_3ILm32ELm8EEEvPdS2_ll.kd
    .uniform_work_group_size: 1
    .uses_dynamic_stack: false
    .vgpr_count:     10
    .vgpr_spill_count: 0
    .wavefront_size: 64
  - .agpr_count:     0
    .args:
      - .address_space:  global
        .offset:         0
        .size:           8
        .value_kind:     global_buffer
      - .address_space:  global
        .offset:         8
        .size:           8
        .value_kind:     global_buffer
      - .address_space:  global
        .offset:         16
        .size:           8
        .value_kind:     global_buffer
      - .offset:         24
        .size:           8
        .value_kind:     by_value
      - .offset:         32
        .size:           8
        .value_kind:     by_value
    .group_segment_fixed_size: 0
    .kernarg_segment_align: 8
    .kernarg_segment_size: 40
    .language:       OpenCL C
    .language_version:
      - 2
      - 0
    .max_flat_workgroup_size: 256
    .name:           _ZN8rajaperf9polybench13poly_fdtd2d_4ILm32ELm8EEEvPdS2_S2_ll
    .private_segment_fixed_size: 0
    .sgpr_count:     20
    .sgpr_spill_count: 0
    .symbol:         _ZN8rajaperf9polybench13poly_fdtd2d_4ILm32ELm8EEEvPdS2_S2_ll.kd
    .uniform_work_group_size: 1
    .uses_dynamic_stack: false
    .vgpr_count:     17
    .vgpr_spill_count: 0
    .wavefront_size: 64
  - .agpr_count:     0
    .args:
      - .offset:         0
        .size:           8
        .value_kind:     by_value
      - .offset:         8
        .size:           32
        .value_kind:     by_value
    .group_segment_fixed_size: 0
    .kernarg_segment_align: 8
    .kernarg_segment_size: 40
    .language:       OpenCL C
    .language_version:
      - 2
      - 0
    .max_flat_workgroup_size: 256
    .name:           _ZN8rajaperf9polybench17poly_fdtd2d_1_lamILm256EZNS0_17POLYBENCH_FDTD_2D17runHipVariantImplILm256EEEvNS_9VariantIDEEUllE_EEvlT0_
    .private_segment_fixed_size: 0
    .sgpr_count:     12
    .sgpr_spill_count: 0
    .symbol:         _ZN8rajaperf9polybench17poly_fdtd2d_1_lamILm256EZNS0_17POLYBENCH_FDTD_2D17runHipVariantImplILm256EEEvNS_9VariantIDEEUllE_EEvlT0_.kd
    .uniform_work_group_size: 1
    .uses_dynamic_stack: false
    .vgpr_count:     4
    .vgpr_spill_count: 0
    .wavefront_size: 64
  - .agpr_count:     0
    .args:
      - .offset:         0
        .size:           8
        .value_kind:     by_value
      - .offset:         8
        .size:           8
        .value_kind:     by_value
      - .offset:         16
        .size:           24
        .value_kind:     by_value
    .group_segment_fixed_size: 0
    .kernarg_segment_align: 8
    .kernarg_segment_size: 40
    .language:       OpenCL C
    .language_version:
      - 2
      - 0
    .max_flat_workgroup_size: 256
    .name:           _ZN8rajaperf9polybench17poly_fdtd2d_2_lamILm32ELm8EZNS0_17POLYBENCH_FDTD_2D17runHipVariantImplILm256EEEvNS_9VariantIDEEUlllE_EEvllT1_
    .private_segment_fixed_size: 0
    .sgpr_count:     16
    .sgpr_spill_count: 0
    .symbol:         _ZN8rajaperf9polybench17poly_fdtd2d_2_lamILm32ELm8EZNS0_17POLYBENCH_FDTD_2D17runHipVariantImplILm256EEEvNS_9VariantIDEEUlllE_EEvllT1_.kd
    .uniform_work_group_size: 1
    .uses_dynamic_stack: false
    .vgpr_count:     12
    .vgpr_spill_count: 0
    .wavefront_size: 64
  - .agpr_count:     0
    .args:
      - .offset:         0
        .size:           8
        .value_kind:     by_value
      - .offset:         8
        .size:           8
        .value_kind:     by_value
      - .offset:         16
        .size:           24
        .value_kind:     by_value
    .group_segment_fixed_size: 0
    .kernarg_segment_align: 8
    .kernarg_segment_size: 40
    .language:       OpenCL C
    .language_version:
      - 2
      - 0
    .max_flat_workgroup_size: 256
    .name:           _ZN8rajaperf9polybench17poly_fdtd2d_3_lamILm32ELm8EZNS0_17POLYBENCH_FDTD_2D17runHipVariantImplILm256EEEvNS_9VariantIDEEUlllE0_EEvllT1_
    .private_segment_fixed_size: 0
    .sgpr_count:     16
    .sgpr_spill_count: 0
    .symbol:         _ZN8rajaperf9polybench17poly_fdtd2d_3_lamILm32ELm8EZNS0_17POLYBENCH_FDTD_2D17runHipVariantImplILm256EEEvNS_9VariantIDEEUlllE0_EEvllT1_.kd
    .uniform_work_group_size: 1
    .uses_dynamic_stack: false
    .vgpr_count:     10
    .vgpr_spill_count: 0
    .wavefront_size: 64
  - .agpr_count:     0
    .args:
      - .offset:         0
        .size:           8
        .value_kind:     by_value
      - .offset:         8
        .size:           8
        .value_kind:     by_value
      - .offset:         16
        .size:           32
        .value_kind:     by_value
    .group_segment_fixed_size: 0
    .kernarg_segment_align: 8
    .kernarg_segment_size: 48
    .language:       OpenCL C
    .language_version:
      - 2
      - 0
    .max_flat_workgroup_size: 256
    .name:           _ZN8rajaperf9polybench17poly_fdtd2d_4_lamILm32ELm8EZNS0_17POLYBENCH_FDTD_2D17runHipVariantImplILm256EEEvNS_9VariantIDEEUlllE1_EEvllT1_
    .private_segment_fixed_size: 0
    .sgpr_count:     16
    .sgpr_spill_count: 0
    .symbol:         _ZN8rajaperf9polybench17poly_fdtd2d_4_lamILm32ELm8EZNS0_17POLYBENCH_FDTD_2D17runHipVariantImplILm256EEEvNS_9VariantIDEEUlllE1_EEvllT1_.kd
    .uniform_work_group_size: 1
    .uses_dynamic_stack: false
    .vgpr_count:     15
    .vgpr_spill_count: 0
    .wavefront_size: 64
  - .agpr_count:     0
    .args:
      - .offset:         0
        .size:           88
        .value_kind:     by_value
      - .offset:         88
        .size:           8
        .value_kind:     by_value
      - .offset:         96
        .size:           8
        .value_kind:     by_value
      - .offset:         104
        .size:           1
        .value_kind:     by_value
    .group_segment_fixed_size: 0
    .kernarg_segment_align: 8
    .kernarg_segment_size: 108
    .language:       OpenCL C
    .language_version:
      - 2
      - 0
    .max_flat_workgroup_size: 256
    .name:           _ZN4RAJA6policy3hip4impl18forallp_hip_kernelINS1_8hip_execINS_17iteration_mapping6DirectENS_3hip11IndexGlobalILNS_9named_dimE0ELi256ELi0EEENS7_40AvoidDeviceMaxThreadOccupancyConcretizerINS7_34FractionOffsetOccupancyConcretizerINS_8FractionImLm1ELm1EEELln1EEEEELb1EEENS_9Iterators16numeric_iteratorIllPlEEZN8rajaperf9polybench17POLYBENCH_FDTD_2D17runHipVariantImplILm256EEEvNSM_9VariantIDEEUllE0_lNS_4expt15ForallParamPackIJEEES6_SA_TnNSt9enable_ifIXaasr3std10is_base_ofINS5_10DirectBaseET4_EE5valuegtsrT5_10block_sizeLi0EEmE4typeELm256EEEvT1_T0_T2_T3_
    .private_segment_fixed_size: 0
    .sgpr_count:     16
    .sgpr_spill_count: 0
    .symbol:         _ZN4RAJA6policy3hip4impl18forallp_hip_kernelINS1_8hip_execINS_17iteration_mapping6DirectENS_3hip11IndexGlobalILNS_9named_dimE0ELi256ELi0EEENS7_40AvoidDeviceMaxThreadOccupancyConcretizerINS7_34FractionOffsetOccupancyConcretizerINS_8FractionImLm1ELm1EEELln1EEEEELb1EEENS_9Iterators16numeric_iteratorIllPlEEZN8rajaperf9polybench17POLYBENCH_FDTD_2D17runHipVariantImplILm256EEEvNSM_9VariantIDEEUllE0_lNS_4expt15ForallParamPackIJEEES6_SA_TnNSt9enable_ifIXaasr3std10is_base_ofINS5_10DirectBaseET4_EE5valuegtsrT5_10block_sizeLi0EEmE4typeELm256EEEvT1_T0_T2_T3_.kd
    .uniform_work_group_size: 1
    .uses_dynamic_stack: false
    .vgpr_count:     4
    .vgpr_spill_count: 0
    .wavefront_size: 64
  - .agpr_count:     0
    .args:
      - .offset:         0
        .size:           224
        .value_kind:     by_value
    .group_segment_fixed_size: 0
    .kernarg_segment_align: 8
    .kernarg_segment_size: 224
    .language:       OpenCL C
    .language_version:
      - 2
      - 0
    .max_flat_workgroup_size: 256
    .name:           _ZN4RAJA8internal22HipKernelLauncherFixedILi256ENS0_8LoopDataIN4camp5tupleIJNS_4SpanINS_9Iterators16numeric_iteratorIllPlEElEESA_EEENS4_IJEEENS3_9resources2v13HipEJZN8rajaperf9polybench17POLYBENCH_FDTD_2D17runHipVariantImplILm256EEEvNSG_9VariantIDEEUlllE2_EEENS0_24HipStatementListExecutorISM_NS3_4listIJNS_9statement3ForILl0ENS_6policy3hip11hip_indexerINS_17iteration_mapping6DirectELNS_23kernel_sync_requirementE0EJNS_3hip11IndexGlobalILNS_9named_dimE1ELi8ELi0EEEEEEJNSQ_ILl1ENST_ISV_LSW_0EJNSY_ILSZ_0ELi32ELi0EEEEEEJNSP_6LambdaILl0EJEEEEEEEEEEEENS0_9LoopTypesINSO_IJvvEEES1A_EEEEEEvT0_
    .private_segment_fixed_size: 0
    .sgpr_count:     20
    .sgpr_spill_count: 0
    .symbol:         _ZN4RAJA8internal22HipKernelLauncherFixedILi256ENS0_8LoopDataIN4camp5tupleIJNS_4SpanINS_9Iterators16numeric_iteratorIllPlEElEESA_EEENS4_IJEEENS3_9resources2v13HipEJZN8rajaperf9polybench17POLYBENCH_FDTD_2D17runHipVariantImplILm256EEEvNSG_9VariantIDEEUlllE2_EEENS0_24HipStatementListExecutorISM_NS3_4listIJNS_9statement3ForILl0ENS_6policy3hip11hip_indexerINS_17iteration_mapping6DirectELNS_23kernel_sync_requirementE0EJNS_3hip11IndexGlobalILNS_9named_dimE1ELi8ELi0EEEEEEJNSQ_ILl1ENST_ISV_LSW_0EJNSY_ILSZ_0ELi32ELi0EEEEEEJNSP_6LambdaILl0EJEEEEEEEEEEEENS0_9LoopTypesINSO_IJvvEEES1A_EEEEEEvT0_.kd
    .uniform_work_group_size: 1
    .uses_dynamic_stack: false
    .vgpr_count:     12
    .vgpr_spill_count: 0
    .wavefront_size: 64
  - .agpr_count:     0
    .args:
      - .offset:         0
        .size:           224
        .value_kind:     by_value
    .group_segment_fixed_size: 0
    .kernarg_segment_align: 8
    .kernarg_segment_size: 224
    .language:       OpenCL C
    .language_version:
      - 2
      - 0
    .max_flat_workgroup_size: 256
    .name:           _ZN4RAJA8internal22HipKernelLauncherFixedILi256ENS0_8LoopDataIN4camp5tupleIJNS_4SpanINS_9Iterators16numeric_iteratorIllPlEElEESA_EEENS4_IJEEENS3_9resources2v13HipEJZN8rajaperf9polybench17POLYBENCH_FDTD_2D17runHipVariantImplILm256EEEvNSG_9VariantIDEEUlllE3_EEENS0_24HipStatementListExecutorISM_NS3_4listIJNS_9statement3ForILl0ENS_6policy3hip11hip_indexerINS_17iteration_mapping6DirectELNS_23kernel_sync_requirementE0EJNS_3hip11IndexGlobalILNS_9named_dimE1ELi8ELi0EEEEEEJNSQ_ILl1ENST_ISV_LSW_0EJNSY_ILSZ_0ELi32ELi0EEEEEEJNSP_6LambdaILl0EJEEEEEEEEEEEENS0_9LoopTypesINSO_IJvvEEES1A_EEEEEEvT0_
    .private_segment_fixed_size: 0
    .sgpr_count:     20
    .sgpr_spill_count: 0
    .symbol:         _ZN4RAJA8internal22HipKernelLauncherFixedILi256ENS0_8LoopDataIN4camp5tupleIJNS_4SpanINS_9Iterators16numeric_iteratorIllPlEElEESA_EEENS4_IJEEENS3_9resources2v13HipEJZN8rajaperf9polybench17POLYBENCH_FDTD_2D17runHipVariantImplILm256EEEvNSG_9VariantIDEEUlllE3_EEENS0_24HipStatementListExecutorISM_NS3_4listIJNS_9statement3ForILl0ENS_6policy3hip11hip_indexerINS_17iteration_mapping6DirectELNS_23kernel_sync_requirementE0EJNS_3hip11IndexGlobalILNS_9named_dimE1ELi8ELi0EEEEEEJNSQ_ILl1ENST_ISV_LSW_0EJNSY_ILSZ_0ELi32ELi0EEEEEEJNSP_6LambdaILl0EJEEEEEEEEEEEENS0_9LoopTypesINSO_IJvvEEES1A_EEEEEEvT0_.kd
    .uniform_work_group_size: 1
    .uses_dynamic_stack: false
    .vgpr_count:     10
    .vgpr_spill_count: 0
    .wavefront_size: 64
  - .agpr_count:     0
    .args:
      - .offset:         0
        .size:           296
        .value_kind:     by_value
    .group_segment_fixed_size: 0
    .kernarg_segment_align: 8
    .kernarg_segment_size: 296
    .language:       OpenCL C
    .language_version:
      - 2
      - 0
    .max_flat_workgroup_size: 256
    .name:           _ZN4RAJA8internal22HipKernelLauncherFixedILi256ENS0_8LoopDataIN4camp5tupleIJNS_4SpanINS_9Iterators16numeric_iteratorIllPlEElEESA_EEENS4_IJEEENS3_9resources2v13HipEJZN8rajaperf9polybench17POLYBENCH_FDTD_2D17runHipVariantImplILm256EEEvNSG_9VariantIDEEUlllE4_EEENS0_24HipStatementListExecutorISM_NS3_4listIJNS_9statement3ForILl0ENS_6policy3hip11hip_indexerINS_17iteration_mapping6DirectELNS_23kernel_sync_requirementE0EJNS_3hip11IndexGlobalILNS_9named_dimE1ELi8ELi0EEEEEEJNSQ_ILl1ENST_ISV_LSW_0EJNSY_ILSZ_0ELi32ELi0EEEEEEJNSP_6LambdaILl0EJEEEEEEEEEEEENS0_9LoopTypesINSO_IJvvEEES1A_EEEEEEvT0_
    .private_segment_fixed_size: 0
    .sgpr_count:     22
    .sgpr_spill_count: 0
    .symbol:         _ZN4RAJA8internal22HipKernelLauncherFixedILi256ENS0_8LoopDataIN4camp5tupleIJNS_4SpanINS_9Iterators16numeric_iteratorIllPlEElEESA_EEENS4_IJEEENS3_9resources2v13HipEJZN8rajaperf9polybench17POLYBENCH_FDTD_2D17runHipVariantImplILm256EEEvNSG_9VariantIDEEUlllE4_EEENS0_24HipStatementListExecutorISM_NS3_4listIJNS_9statement3ForILl0ENS_6policy3hip11hip_indexerINS_17iteration_mapping6DirectELNS_23kernel_sync_requirementE0EJNS_3hip11IndexGlobalILNS_9named_dimE1ELi8ELi0EEEEEEJNSQ_ILl1ENST_ISV_LSW_0EJNSY_ILSZ_0ELi32ELi0EEEEEEJNSP_6LambdaILl0EJEEEEEEEEEEEENS0_9LoopTypesINSO_IJvvEEES1A_EEEEEEvT0_.kd
    .uniform_work_group_size: 1
    .uses_dynamic_stack: false
    .vgpr_count:     16
    .vgpr_spill_count: 0
    .wavefront_size: 64
amdhsa.target:   amdgcn-amd-amdhsa--gfx90a
amdhsa.version:
  - 1
  - 2
...

	.end_amdgpu_metadata
